;; amdgpu-corpus repo=ROCm/rocFFT kind=compiled arch=gfx1201 opt=O3
	.text
	.amdgcn_target "amdgcn-amd-amdhsa--gfx1201"
	.amdhsa_code_object_version 6
	.protected	fft_rtc_back_len2023_factors_17_7_17_wgs_119_tpt_119_halfLds_sp_op_CI_CI_sbrr_dirReg ; -- Begin function fft_rtc_back_len2023_factors_17_7_17_wgs_119_tpt_119_halfLds_sp_op_CI_CI_sbrr_dirReg
	.globl	fft_rtc_back_len2023_factors_17_7_17_wgs_119_tpt_119_halfLds_sp_op_CI_CI_sbrr_dirReg
	.p2align	8
	.type	fft_rtc_back_len2023_factors_17_7_17_wgs_119_tpt_119_halfLds_sp_op_CI_CI_sbrr_dirReg,@function
fft_rtc_back_len2023_factors_17_7_17_wgs_119_tpt_119_halfLds_sp_op_CI_CI_sbrr_dirReg: ; @fft_rtc_back_len2023_factors_17_7_17_wgs_119_tpt_119_halfLds_sp_op_CI_CI_sbrr_dirReg
; %bb.0:
	s_clause 0x2
	s_load_b128 s[12:15], s[0:1], 0x18
	s_load_b128 s[8:11], s[0:1], 0x0
	;; [unrolled: 1-line block ×3, first 2 shown]
	v_mul_u32_u24_e32 v1, 0x227, v0
	v_mov_b32_e32 v5, 0
	v_mov_b32_e32 v27, 0
	;; [unrolled: 1-line block ×3, first 2 shown]
	s_wait_kmcnt 0x0
	s_load_b64 s[18:19], s[12:13], 0x0
	s_load_b64 s[16:17], s[14:15], 0x0
	v_lshrrev_b32_e32 v1, 16, v1
	v_cmp_lt_u64_e64 s2, s[10:11], 2
	s_delay_alu instid0(VALU_DEP_2) | instskip(NEXT) | instid1(VALU_DEP_2)
	v_dual_mov_b32 v8, v5 :: v_dual_add_nc_u32 v7, ttmp9, v1
	s_and_b32 vcc_lo, exec_lo, s2
	s_cbranch_vccnz .LBB0_8
; %bb.1:
	s_load_b64 s[2:3], s[0:1], 0x10
	v_mov_b32_e32 v27, 0
	v_mov_b32_e32 v28, 0
	s_delay_alu instid0(VALU_DEP_2)
	v_mov_b32_e32 v1, v27
	s_add_nc_u64 s[20:21], s[14:15], 8
	s_add_nc_u64 s[22:23], s[12:13], 8
	s_mov_b64 s[24:25], 1
	v_mov_b32_e32 v2, v28
	s_wait_kmcnt 0x0
	s_add_nc_u64 s[26:27], s[2:3], 8
	s_mov_b32 s3, 0
.LBB0_2:                                ; =>This Inner Loop Header: Depth=1
	s_load_b64 s[28:29], s[26:27], 0x0
                                        ; implicit-def: $vgpr3_vgpr4
	s_mov_b32 s2, exec_lo
	s_wait_kmcnt 0x0
	v_or_b32_e32 v6, s29, v8
	s_delay_alu instid0(VALU_DEP_1)
	v_cmpx_ne_u64_e32 0, v[5:6]
	s_wait_alu 0xfffe
	s_xor_b32 s30, exec_lo, s2
	s_cbranch_execz .LBB0_4
; %bb.3:                                ;   in Loop: Header=BB0_2 Depth=1
	s_cvt_f32_u32 s2, s28
	s_cvt_f32_u32 s31, s29
	s_sub_nc_u64 s[36:37], 0, s[28:29]
	s_wait_alu 0xfffe
	s_delay_alu instid0(SALU_CYCLE_1) | instskip(SKIP_1) | instid1(SALU_CYCLE_2)
	s_fmamk_f32 s2, s31, 0x4f800000, s2
	s_wait_alu 0xfffe
	v_s_rcp_f32 s2, s2
	s_delay_alu instid0(TRANS32_DEP_1) | instskip(SKIP_1) | instid1(SALU_CYCLE_2)
	s_mul_f32 s2, s2, 0x5f7ffffc
	s_wait_alu 0xfffe
	s_mul_f32 s31, s2, 0x2f800000
	s_wait_alu 0xfffe
	s_delay_alu instid0(SALU_CYCLE_2) | instskip(SKIP_1) | instid1(SALU_CYCLE_2)
	s_trunc_f32 s31, s31
	s_wait_alu 0xfffe
	s_fmamk_f32 s2, s31, 0xcf800000, s2
	s_cvt_u32_f32 s35, s31
	s_wait_alu 0xfffe
	s_delay_alu instid0(SALU_CYCLE_1) | instskip(SKIP_1) | instid1(SALU_CYCLE_2)
	s_cvt_u32_f32 s34, s2
	s_wait_alu 0xfffe
	s_mul_u64 s[38:39], s[36:37], s[34:35]
	s_wait_alu 0xfffe
	s_mul_hi_u32 s41, s34, s39
	s_mul_i32 s40, s34, s39
	s_mul_hi_u32 s2, s34, s38
	s_mul_i32 s33, s35, s38
	s_wait_alu 0xfffe
	s_add_nc_u64 s[40:41], s[2:3], s[40:41]
	s_mul_hi_u32 s31, s35, s38
	s_mul_hi_u32 s42, s35, s39
	s_add_co_u32 s2, s40, s33
	s_wait_alu 0xfffe
	s_add_co_ci_u32 s2, s41, s31
	s_mul_i32 s38, s35, s39
	s_add_co_ci_u32 s39, s42, 0
	s_wait_alu 0xfffe
	s_add_nc_u64 s[38:39], s[2:3], s[38:39]
	s_wait_alu 0xfffe
	v_add_co_u32 v3, s2, s34, s38
	s_delay_alu instid0(VALU_DEP_1) | instskip(SKIP_1) | instid1(VALU_DEP_1)
	s_cmp_lg_u32 s2, 0
	s_add_co_ci_u32 s35, s35, s39
	v_readfirstlane_b32 s34, v3
	s_wait_alu 0xfffe
	s_delay_alu instid0(VALU_DEP_1)
	s_mul_u64 s[36:37], s[36:37], s[34:35]
	s_wait_alu 0xfffe
	s_mul_hi_u32 s39, s34, s37
	s_mul_i32 s38, s34, s37
	s_mul_hi_u32 s2, s34, s36
	s_mul_i32 s33, s35, s36
	s_wait_alu 0xfffe
	s_add_nc_u64 s[38:39], s[2:3], s[38:39]
	s_mul_hi_u32 s31, s35, s36
	s_mul_hi_u32 s34, s35, s37
	s_wait_alu 0xfffe
	s_add_co_u32 s2, s38, s33
	s_add_co_ci_u32 s2, s39, s31
	s_mul_i32 s36, s35, s37
	s_add_co_ci_u32 s37, s34, 0
	s_wait_alu 0xfffe
	s_add_nc_u64 s[36:37], s[2:3], s[36:37]
	s_wait_alu 0xfffe
	v_add_co_u32 v6, s2, v3, s36
	s_delay_alu instid0(VALU_DEP_1) | instskip(SKIP_1) | instid1(VALU_DEP_1)
	s_cmp_lg_u32 s2, 0
	s_add_co_ci_u32 s2, s35, s37
	v_mul_hi_u32 v13, v7, v6
	s_wait_alu 0xfffe
	v_mad_co_u64_u32 v[3:4], null, v7, s2, 0
	v_mad_co_u64_u32 v[9:10], null, v8, v6, 0
	;; [unrolled: 1-line block ×3, first 2 shown]
	s_delay_alu instid0(VALU_DEP_3) | instskip(SKIP_1) | instid1(VALU_DEP_4)
	v_add_co_u32 v3, vcc_lo, v13, v3
	s_wait_alu 0xfffd
	v_add_co_ci_u32_e32 v4, vcc_lo, 0, v4, vcc_lo
	s_delay_alu instid0(VALU_DEP_2) | instskip(SKIP_1) | instid1(VALU_DEP_2)
	v_add_co_u32 v3, vcc_lo, v3, v9
	s_wait_alu 0xfffd
	v_add_co_ci_u32_e32 v3, vcc_lo, v4, v10, vcc_lo
	s_wait_alu 0xfffd
	v_add_co_ci_u32_e32 v4, vcc_lo, 0, v12, vcc_lo
	s_delay_alu instid0(VALU_DEP_2) | instskip(SKIP_1) | instid1(VALU_DEP_2)
	v_add_co_u32 v6, vcc_lo, v3, v11
	s_wait_alu 0xfffd
	v_add_co_ci_u32_e32 v9, vcc_lo, 0, v4, vcc_lo
	s_delay_alu instid0(VALU_DEP_2) | instskip(SKIP_1) | instid1(VALU_DEP_3)
	v_mul_lo_u32 v10, s29, v6
	v_mad_co_u64_u32 v[3:4], null, s28, v6, 0
	v_mul_lo_u32 v11, s28, v9
	s_delay_alu instid0(VALU_DEP_2) | instskip(NEXT) | instid1(VALU_DEP_2)
	v_sub_co_u32 v3, vcc_lo, v7, v3
	v_add3_u32 v4, v4, v11, v10
	s_delay_alu instid0(VALU_DEP_1) | instskip(SKIP_1) | instid1(VALU_DEP_1)
	v_sub_nc_u32_e32 v10, v8, v4
	s_wait_alu 0xfffd
	v_subrev_co_ci_u32_e64 v10, s2, s29, v10, vcc_lo
	v_add_co_u32 v11, s2, v6, 2
	s_wait_alu 0xf1ff
	v_add_co_ci_u32_e64 v12, s2, 0, v9, s2
	v_sub_co_u32 v13, s2, v3, s28
	v_sub_co_ci_u32_e32 v4, vcc_lo, v8, v4, vcc_lo
	s_wait_alu 0xf1ff
	v_subrev_co_ci_u32_e64 v10, s2, 0, v10, s2
	s_delay_alu instid0(VALU_DEP_3) | instskip(NEXT) | instid1(VALU_DEP_3)
	v_cmp_le_u32_e32 vcc_lo, s28, v13
	v_cmp_eq_u32_e64 s2, s29, v4
	s_wait_alu 0xfffd
	v_cndmask_b32_e64 v13, 0, -1, vcc_lo
	v_cmp_le_u32_e32 vcc_lo, s29, v10
	s_wait_alu 0xfffd
	v_cndmask_b32_e64 v14, 0, -1, vcc_lo
	v_cmp_le_u32_e32 vcc_lo, s28, v3
	;; [unrolled: 3-line block ×3, first 2 shown]
	s_wait_alu 0xfffd
	v_cndmask_b32_e64 v15, 0, -1, vcc_lo
	v_cmp_eq_u32_e32 vcc_lo, s29, v10
	s_wait_alu 0xf1ff
	s_delay_alu instid0(VALU_DEP_2)
	v_cndmask_b32_e64 v3, v15, v3, s2
	s_wait_alu 0xfffd
	v_cndmask_b32_e32 v10, v14, v13, vcc_lo
	v_add_co_u32 v13, vcc_lo, v6, 1
	s_wait_alu 0xfffd
	v_add_co_ci_u32_e32 v14, vcc_lo, 0, v9, vcc_lo
	s_delay_alu instid0(VALU_DEP_3) | instskip(SKIP_1) | instid1(VALU_DEP_2)
	v_cmp_ne_u32_e32 vcc_lo, 0, v10
	s_wait_alu 0xfffd
	v_cndmask_b32_e32 v4, v14, v12, vcc_lo
	v_cndmask_b32_e32 v10, v13, v11, vcc_lo
	v_cmp_ne_u32_e32 vcc_lo, 0, v3
	s_wait_alu 0xfffd
	s_delay_alu instid0(VALU_DEP_2)
	v_dual_cndmask_b32 v4, v9, v4 :: v_dual_cndmask_b32 v3, v6, v10
.LBB0_4:                                ;   in Loop: Header=BB0_2 Depth=1
	s_wait_alu 0xfffe
	s_and_not1_saveexec_b32 s2, s30
	s_cbranch_execz .LBB0_6
; %bb.5:                                ;   in Loop: Header=BB0_2 Depth=1
	v_cvt_f32_u32_e32 v3, s28
	s_sub_co_i32 s30, 0, s28
	s_delay_alu instid0(VALU_DEP_1) | instskip(NEXT) | instid1(TRANS32_DEP_1)
	v_rcp_iflag_f32_e32 v3, v3
	v_mul_f32_e32 v3, 0x4f7ffffe, v3
	s_delay_alu instid0(VALU_DEP_1) | instskip(SKIP_1) | instid1(VALU_DEP_1)
	v_cvt_u32_f32_e32 v3, v3
	s_wait_alu 0xfffe
	v_mul_lo_u32 v4, s30, v3
	s_delay_alu instid0(VALU_DEP_1) | instskip(NEXT) | instid1(VALU_DEP_1)
	v_mul_hi_u32 v4, v3, v4
	v_add_nc_u32_e32 v3, v3, v4
	s_delay_alu instid0(VALU_DEP_1) | instskip(NEXT) | instid1(VALU_DEP_1)
	v_mul_hi_u32 v3, v7, v3
	v_mul_lo_u32 v4, v3, s28
	v_add_nc_u32_e32 v6, 1, v3
	s_delay_alu instid0(VALU_DEP_2) | instskip(NEXT) | instid1(VALU_DEP_1)
	v_sub_nc_u32_e32 v4, v7, v4
	v_subrev_nc_u32_e32 v9, s28, v4
	v_cmp_le_u32_e32 vcc_lo, s28, v4
	s_wait_alu 0xfffd
	s_delay_alu instid0(VALU_DEP_2) | instskip(NEXT) | instid1(VALU_DEP_1)
	v_dual_cndmask_b32 v4, v4, v9 :: v_dual_cndmask_b32 v3, v3, v6
	v_cmp_le_u32_e32 vcc_lo, s28, v4
	v_mov_b32_e32 v4, v5
	s_delay_alu instid0(VALU_DEP_3) | instskip(SKIP_1) | instid1(VALU_DEP_1)
	v_add_nc_u32_e32 v6, 1, v3
	s_wait_alu 0xfffd
	v_cndmask_b32_e32 v3, v3, v6, vcc_lo
.LBB0_6:                                ;   in Loop: Header=BB0_2 Depth=1
	s_wait_alu 0xfffe
	s_or_b32 exec_lo, exec_lo, s2
	v_mul_lo_u32 v6, v4, s28
	s_delay_alu instid0(VALU_DEP_2)
	v_mul_lo_u32 v11, v3, s29
	s_load_b64 s[30:31], s[22:23], 0x0
	v_mad_co_u64_u32 v[9:10], null, v3, s28, 0
	s_load_b64 s[28:29], s[20:21], 0x0
	s_add_nc_u64 s[24:25], s[24:25], 1
	s_add_nc_u64 s[20:21], s[20:21], 8
	s_wait_alu 0xfffe
	v_cmp_ge_u64_e64 s2, s[24:25], s[10:11]
	s_add_nc_u64 s[22:23], s[22:23], 8
	s_add_nc_u64 s[26:27], s[26:27], 8
	v_add3_u32 v6, v10, v11, v6
	v_sub_co_u32 v7, vcc_lo, v7, v9
	s_wait_alu 0xfffd
	s_delay_alu instid0(VALU_DEP_2) | instskip(SKIP_2) | instid1(VALU_DEP_1)
	v_sub_co_ci_u32_e32 v6, vcc_lo, v8, v6, vcc_lo
	s_and_b32 vcc_lo, exec_lo, s2
	s_wait_kmcnt 0x0
	v_mul_lo_u32 v8, s30, v6
	v_mul_lo_u32 v9, s31, v7
	v_mad_co_u64_u32 v[27:28], null, s30, v7, v[27:28]
	v_mul_lo_u32 v6, s28, v6
	v_mul_lo_u32 v10, s29, v7
	v_mad_co_u64_u32 v[1:2], null, s28, v7, v[1:2]
	s_delay_alu instid0(VALU_DEP_4) | instskip(NEXT) | instid1(VALU_DEP_2)
	v_add3_u32 v28, v9, v28, v8
	v_add3_u32 v2, v10, v2, v6
	s_wait_alu 0xfffe
	s_cbranch_vccnz .LBB0_9
; %bb.7:                                ;   in Loop: Header=BB0_2 Depth=1
	v_dual_mov_b32 v8, v4 :: v_dual_mov_b32 v7, v3
	s_branch .LBB0_2
.LBB0_8:
	v_dual_mov_b32 v1, v27 :: v_dual_mov_b32 v2, v28
	s_delay_alu instid0(VALU_DEP_2)
	v_dual_mov_b32 v3, v7 :: v_dual_mov_b32 v4, v8
.LBB0_9:
	s_load_b64 s[0:1], s[0:1], 0x28
	v_mul_hi_u32 v5, 0x226b903, v0
	s_lshl_b64 s[10:11], s[10:11], 3
                                        ; implicit-def: $sgpr2_sgpr3
                                        ; implicit-def: $sgpr20
                                        ; implicit-def: $vgpr52
                                        ; implicit-def: $vgpr53
                                        ; implicit-def: $vgpr54
	s_wait_kmcnt 0x0
	v_cmp_gt_u64_e32 vcc_lo, s[0:1], v[3:4]
	v_cmp_le_u64_e64 s0, s[0:1], v[3:4]
	s_delay_alu instid0(VALU_DEP_1)
	s_and_saveexec_b32 s1, s0
	s_wait_alu 0xfffe
	s_xor_b32 s0, exec_lo, s1
; %bb.10:
	v_mul_u32_u24_e32 v5, 0x77, v5
	s_mov_b32 s20, 0
	s_mov_b64 s[2:3], 0
                                        ; implicit-def: $vgpr27_vgpr28
	s_delay_alu instid0(VALU_DEP_1) | instskip(NEXT) | instid1(VALU_DEP_1)
	v_sub_nc_u32_e32 v52, v0, v5
                                        ; implicit-def: $vgpr5
                                        ; implicit-def: $vgpr0
	v_add_nc_u32_e32 v53, 0x77, v52
	v_add_nc_u32_e32 v54, 0xee, v52
; %bb.11:
	s_wait_alu 0xfffe
	s_or_saveexec_b32 s1, s0
	v_dual_mov_b32 v51, s20 :: v_dual_mov_b32 v24, s3
	v_mov_b32_e32 v23, s2
	s_add_nc_u64 s[2:3], s[14:15], s[10:11]
                                        ; implicit-def: $vgpr44
                                        ; implicit-def: $vgpr40
                                        ; implicit-def: $vgpr22
                                        ; implicit-def: $vgpr20
                                        ; implicit-def: $vgpr16
                                        ; implicit-def: $vgpr12
                                        ; implicit-def: $vgpr6
                                        ; implicit-def: $vgpr8
                                        ; implicit-def: $vgpr10
                                        ; implicit-def: $vgpr18
                                        ; implicit-def: $vgpr46
                                        ; implicit-def: $vgpr50
                                        ; implicit-def: $vgpr48
                                        ; implicit-def: $vgpr42
                                        ; implicit-def: $vgpr26
                                        ; implicit-def: $vgpr14
	s_wait_alu 0xfffe
	s_xor_b32 exec_lo, exec_lo, s1
	s_cbranch_execz .LBB0_13
; %bb.12:
	s_add_nc_u64 s[10:11], s[12:13], s[10:11]
	v_mul_u32_u24_e32 v5, 0x77, v5
	s_load_b64 s[10:11], s[10:11], 0x0
	v_lshlrev_b64_e32 v[7:8], 3, v[27:28]
	s_delay_alu instid0(VALU_DEP_2) | instskip(NEXT) | instid1(VALU_DEP_1)
	v_sub_nc_u32_e32 v52, v0, v5
	v_mad_co_u64_u32 v[5:6], null, s18, v52, 0
	v_add_nc_u32_e32 v53, 0x77, v52
	v_add_nc_u32_e32 v54, 0xee, v52
	;; [unrolled: 1-line block ×5, first 2 shown]
	v_dual_mov_b32 v0, v6 :: v_dual_add_nc_u32 v27, 0x341, v52
	v_mad_co_u64_u32 v[9:10], null, s18, v53, 0
	v_mad_co_u64_u32 v[11:12], null, s18, v54, 0
	s_wait_kmcnt 0x0
	v_mul_lo_u32 v20, s11, v3
	v_mul_lo_u32 v22, s10, v4
	v_mad_co_u64_u32 v[13:14], null, s10, v3, 0
	v_add_nc_u32_e32 v21, 0x165, v52
	v_mad_co_u64_u32 v[15:16], null, s19, v52, v[0:1]
	v_mov_b32_e32 v0, v10
	v_mov_b32_e32 v6, v12
	s_delay_alu instid0(VALU_DEP_4) | instskip(SKIP_1) | instid1(VALU_DEP_4)
	v_mad_co_u64_u32 v[16:17], null, s18, v21, 0
	v_add3_u32 v14, v14, v22, v20
	v_mad_co_u64_u32 v[18:19], null, s19, v53, v[0:1]
	s_delay_alu instid0(VALU_DEP_4) | instskip(NEXT) | instid1(VALU_DEP_3)
	v_mad_co_u64_u32 v[19:20], null, s19, v54, v[6:7]
	v_lshlrev_b64_e32 v[13:14], 3, v[13:14]
	v_mov_b32_e32 v0, v17
	v_add_nc_u32_e32 v20, 0x1dc, v52
	v_add_nc_u32_e32 v22, 0x253, v52
	v_mov_b32_e32 v6, v15
	v_mad_co_u64_u32 v[25:26], null, s18, v27, 0
	v_add_co_u32 v13, s0, s4, v13
	v_mov_b32_e32 v12, v19
	s_wait_alu 0xf1ff
	v_add_co_ci_u32_e64 v14, s0, s5, v14, s0
	s_delay_alu instid0(VALU_DEP_3) | instskip(SKIP_2) | instid1(VALU_DEP_3)
	v_add_co_u32 v41, s0, v13, v7
	v_mov_b32_e32 v10, v18
	s_wait_alu 0xf1ff
	v_add_co_ci_u32_e64 v42, s0, v14, v8, s0
	v_lshlrev_b64_e32 v[7:8], 3, v[11:12]
	v_mad_co_u64_u32 v[11:12], null, s19, v21, v[0:1]
	v_mad_co_u64_u32 v[12:13], null, s18, v20, 0
	;; [unrolled: 1-line block ×3, first 2 shown]
	v_lshlrev_b64_e32 v[9:10], 3, v[9:10]
	v_add_nc_u32_e32 v29, 0x4a6, v52
	v_mov_b32_e32 v17, v11
	v_dual_mov_b32 v0, v13 :: v_dual_add_nc_u32 v35, 0x682, v52
	v_mov_b32_e32 v51, v52
	v_mov_b32_e32 v11, v15
	s_delay_alu instid0(VALU_DEP_4) | instskip(SKIP_2) | instid1(VALU_DEP_4)
	v_lshlrev_b64_e32 v[15:16], 3, v[16:17]
	v_add_nc_u32_e32 v31, 0x594, v52
	v_mad_co_u64_u32 v[17:18], null, s19, v20, v[0:1]
	v_mad_co_u64_u32 v[18:19], null, s19, v22, v[11:12]
	v_add_nc_u32_e32 v11, 0x2ca, v52
	v_lshlrev_b64_e32 v[5:6], 3, v[5:6]
	v_add_nc_u32_e32 v45, 0x770, v52
	v_mov_b32_e32 v13, v17
	s_delay_alu instid0(VALU_DEP_3) | instskip(SKIP_1) | instid1(VALU_DEP_4)
	v_add_co_u32 v5, s0, v41, v5
	s_wait_alu 0xf1ff
	v_add_co_ci_u32_e64 v6, s0, v42, v6, s0
	v_add_co_u32 v9, s0, v41, v9
	s_wait_alu 0xf1ff
	v_add_co_ci_u32_e64 v10, s0, v42, v10, s0
	;; [unrolled: 3-line block ×4, first 2 shown]
	v_mad_co_u64_u32 v[16:17], null, s18, v11, 0
	s_clause 0x3
	global_load_b64 v[23:24], v[5:6], off
	global_load_b64 v[43:44], v[9:10], off
	;; [unrolled: 1-line block ×4, first 2 shown]
	v_mov_b32_e32 v15, v18
	v_mov_b32_e32 v9, v26
	v_lshlrev_b64_e32 v[5:6], 3, v[12:13]
	v_mov_b32_e32 v0, v17
	s_delay_alu instid0(VALU_DEP_4) | instskip(SKIP_1) | instid1(VALU_DEP_4)
	v_lshlrev_b64_e32 v[7:8], 3, v[14:15]
	v_add_nc_u32_e32 v15, 0x3b8, v52
	v_add_co_u32 v5, s0, v41, v5
	s_delay_alu instid0(VALU_DEP_4) | instskip(NEXT) | instid1(VALU_DEP_3)
	v_mad_co_u64_u32 v[10:11], null, s19, v11, v[0:1]
	v_mad_co_u64_u32 v[13:14], null, s18, v15, 0
	s_wait_alu 0xf1ff
	v_add_co_ci_u32_e64 v6, s0, v42, v6, s0
	v_add_co_u32 v7, s0, v41, v7
	s_delay_alu instid0(VALU_DEP_4) | instskip(SKIP_3) | instid1(VALU_DEP_4)
	v_mov_b32_e32 v17, v10
	v_mad_co_u64_u32 v[11:12], null, s19, v27, v[9:10]
	v_mov_b32_e32 v0, v14
	v_mad_co_u64_u32 v[27:28], null, s18, v29, 0
	v_lshlrev_b64_e32 v[9:10], 3, v[16:17]
	v_add_nc_u32_e32 v16, 0x42f, v52
	s_wait_alu 0xf1ff
	v_add_co_ci_u32_e64 v8, s0, v42, v8, s0
	v_mov_b32_e32 v26, v11
	v_mad_co_u64_u32 v[14:15], null, s19, v15, v[0:1]
	v_mad_co_u64_u32 v[17:18], null, s18, v16, 0
	s_delay_alu instid0(VALU_DEP_3) | instskip(SKIP_3) | instid1(VALU_DEP_4)
	v_lshlrev_b64_e32 v[11:12], 3, v[25:26]
	v_add_co_u32 v9, s0, v41, v9
	s_wait_alu 0xf1ff
	v_add_co_ci_u32_e64 v10, s0, v42, v10, s0
	v_mov_b32_e32 v0, v18
	s_delay_alu instid0(VALU_DEP_4) | instskip(SKIP_2) | instid1(VALU_DEP_3)
	v_add_co_u32 v25, s0, v41, v11
	s_wait_alu 0xf1ff
	v_add_co_ci_u32_e64 v26, s0, v42, v12, s0
	v_mad_co_u64_u32 v[18:19], null, s19, v16, v[0:1]
	v_mov_b32_e32 v0, v28
	s_clause 0x3
	global_load_b64 v[19:20], v[5:6], off
	global_load_b64 v[15:16], v[7:8], off
	;; [unrolled: 1-line block ×4, first 2 shown]
	v_mad_co_u64_u32 v[9:10], null, s18, v30, 0
	v_lshlrev_b64_e32 v[7:8], 3, v[13:14]
	v_mad_co_u64_u32 v[13:14], null, s19, v29, v[0:1]
	v_mad_co_u64_u32 v[25:26], null, s18, v31, 0
	v_lshlrev_b64_e32 v[17:18], 3, v[17:18]
	v_mov_b32_e32 v0, v10
	v_add_co_u32 v7, s0, v41, v7
	v_mov_b32_e32 v28, v13
	s_wait_alu 0xf1ff
	v_add_co_ci_u32_e64 v8, s0, v42, v8, s0
	v_mad_co_u64_u32 v[13:14], null, s19, v30, v[0:1]
	s_delay_alu instid0(VALU_DEP_3)
	v_lshlrev_b64_e32 v[27:28], 3, v[27:28]
	v_mad_co_u64_u32 v[29:30], null, s18, v32, 0
	v_mov_b32_e32 v0, v26
	v_add_co_u32 v17, s0, v41, v17
	s_wait_alu 0xf1ff
	v_add_co_ci_u32_e64 v18, s0, v42, v18, s0
	v_mov_b32_e32 v10, v13
	v_add_co_u32 v13, s0, v41, v27
	v_mad_co_u64_u32 v[26:27], null, s19, v31, v[0:1]
	s_wait_alu 0xf1ff
	v_add_co_ci_u32_e64 v14, s0, v42, v28, s0
	v_mov_b32_e32 v0, v30
	v_mad_co_u64_u32 v[27:28], null, s18, v35, 0
	v_lshlrev_b64_e32 v[9:10], 3, v[9:10]
	v_lshlrev_b64_e32 v[25:26], 3, v[25:26]
	s_delay_alu instid0(VALU_DEP_4)
	v_mad_co_u64_u32 v[32:33], null, s19, v32, v[0:1]
	v_mad_co_u64_u32 v[33:34], null, s18, v38, 0
	v_mov_b32_e32 v0, v28
	v_add_co_u32 v30, s0, v41, v9
	s_wait_alu 0xf1ff
	v_add_co_ci_u32_e64 v31, s0, v42, v10, s0
	s_delay_alu instid0(VALU_DEP_3)
	v_mad_co_u64_u32 v[35:36], null, s19, v35, v[0:1]
	v_mad_co_u64_u32 v[36:37], null, s18, v45, 0
	v_mov_b32_e32 v0, v34
	s_clause 0x3
	global_load_b64 v[7:8], v[7:8], off
	global_load_b64 v[9:10], v[17:18], off
	global_load_b64 v[13:14], v[13:14], off
	global_load_b64 v[17:18], v[30:31], off
	v_mov_b32_e32 v30, v32
	v_add_co_u32 v25, s0, v41, v25
	v_mad_co_u64_u32 v[31:32], null, s19, v38, v[0:1]
	v_mov_b32_e32 v0, v37
	v_mov_b32_e32 v28, v35
	v_lshlrev_b64_e32 v[29:30], 3, v[29:30]
	s_wait_alu 0xf1ff
	v_add_co_ci_u32_e64 v26, s0, v42, v26, s0
	v_mad_co_u64_u32 v[37:38], null, s19, v45, v[0:1]
	v_mov_b32_e32 v34, v31
	v_lshlrev_b64_e32 v[27:28], 3, v[27:28]
	v_add_co_u32 v29, s0, v41, v29
	s_wait_alu 0xf1ff
	v_add_co_ci_u32_e64 v30, s0, v42, v30, s0
	v_lshlrev_b64_e32 v[31:32], 3, v[33:34]
	s_delay_alu instid0(VALU_DEP_4) | instskip(SKIP_3) | instid1(VALU_DEP_4)
	v_add_co_u32 v27, s0, v41, v27
	v_lshlrev_b64_e32 v[33:34], 3, v[36:37]
	s_wait_alu 0xf1ff
	v_add_co_ci_u32_e64 v28, s0, v42, v28, s0
	v_add_co_u32 v31, s0, v41, v31
	s_wait_alu 0xf1ff
	v_add_co_ci_u32_e64 v32, s0, v42, v32, s0
	v_add_co_u32 v33, s0, v41, v33
	s_wait_alu 0xf1ff
	v_add_co_ci_u32_e64 v34, s0, v42, v34, s0
	s_clause 0x4
	global_load_b64 v[25:26], v[25:26], off
	global_load_b64 v[41:42], v[29:30], off
	;; [unrolled: 1-line block ×5, first 2 shown]
.LBB0_13:
	s_or_b32 exec_lo, exec_lo, s1
	s_wait_loadcnt 0x0
	v_dual_add_f32 v0, v43, v23 :: v_dual_sub_f32 v27, v44, v48
	v_dual_add_f32 v29, v39, v49 :: v_dual_sub_f32 v30, v40, v50
	v_add_f32_e32 v28, v43, v47
	s_delay_alu instid0(VALU_DEP_3) | instskip(SKIP_1) | instid1(VALU_DEP_4)
	v_dual_add_f32 v0, v39, v0 :: v_dual_mul_f32 v31, 0xbeb8f4ab, v27
	v_mul_f32_e32 v33, 0xbf65296c, v27
	v_mul_f32_e32 v55, 0xbf7ee86f, v30
	s_load_b64 s[2:3], s[2:3], 0x0
	s_delay_alu instid0(VALU_DEP_3) | instskip(NEXT) | instid1(VALU_DEP_3)
	v_dual_add_f32 v0, v21, v0 :: v_dual_mul_f32 v35, 0xbf763a35, v27
	v_fmamk_f32 v60, v28, 0x3ee437d1, v33
	v_fma_f32 v33, 0x3ee437d1, v28, -v33
	v_fmamk_f32 v58, v28, 0x3f6eb680, v31
	s_delay_alu instid0(VALU_DEP_4) | instskip(SKIP_1) | instid1(VALU_DEP_4)
	v_dual_add_f32 v0, v19, v0 :: v_dual_mul_f32 v37, 0xbf06c442, v27
	v_fma_f32 v31, 0x3f6eb680, v28, -v31
	v_add_f32_e32 v33, v33, v23
	s_delay_alu instid0(VALU_DEP_4) | instskip(NEXT) | instid1(VALU_DEP_4)
	v_add_f32_e32 v58, v58, v23
	v_add_f32_e32 v0, v15, v0
	v_mul_f32_e32 v32, 0xbf2c7751, v27
	v_mul_f32_e32 v57, 0xbe3c28d5, v30
	v_dual_mul_f32 v38, 0xbf2c7751, v30 :: v_dual_add_f32 v31, v31, v23
	s_delay_alu instid0(VALU_DEP_3) | instskip(SKIP_3) | instid1(VALU_DEP_4)
	v_dual_add_f32 v0, v11, v0 :: v_dual_fmamk_f32 v59, v28, 0x3f3d2fb0, v32
	v_fma_f32 v32, 0x3f3d2fb0, v28, -v32
	v_fmamk_f32 v62, v28, 0xbe8c1d8e, v35
	v_fma_f32 v35, 0xbe8c1d8e, v28, -v35
	v_add_f32_e32 v0, v5, v0
	v_dual_mul_f32 v56, 0xbf4c4adb, v30 :: v_dual_add_f32 v59, v59, v23
	v_fmamk_f32 v66, v29, 0x3dbcf732, v55
	v_fma_f32 v55, 0x3dbcf732, v29, -v55
	s_delay_alu instid0(VALU_DEP_3)
	v_dual_add_f32 v32, v32, v23 :: v_dual_fmamk_f32 v67, v29, 0xbf1a4643, v56
	v_fma_f32 v56, 0xbf1a4643, v29, -v56
	v_mul_f32_e32 v36, 0xbf4c4adb, v27
	v_add_f32_e32 v35, v35, v23
	v_add_f32_e32 v0, v7, v0
	v_cmp_gt_u32_e64 s0, 51, v52
	v_add_f32_e32 v33, v56, v33
	v_fmamk_f32 v63, v28, 0xbf1a4643, v36
	v_fmamk_f32 v64, v28, 0xbf59a7d5, v37
	v_add_f32_e32 v0, v9, v0
	v_fma_f32 v37, 0xbf59a7d5, v28, -v37
	v_fma_f32 v36, 0xbf1a4643, v28, -v36
	v_add_f32_e32 v63, v63, v23
	v_add_f32_e32 v64, v64, v23
	;; [unrolled: 1-line block ×8, first 2 shown]
	s_delay_alu instid0(VALU_DEP_1) | instskip(NEXT) | instid1(VALU_DEP_1)
	v_add_f32_e32 v0, v25, v0
	v_add_f32_e32 v0, v41, v0
	s_delay_alu instid0(VALU_DEP_1) | instskip(NEXT) | instid1(VALU_DEP_1)
	v_add_f32_e32 v0, v45, v0
	v_add_f32_e32 v0, v49, v0
	v_mul_f32_e32 v34, 0xbf7ee86f, v27
	v_mul_f32_e32 v27, 0xbe3c28d5, v27
	s_delay_alu instid0(VALU_DEP_3) | instskip(NEXT) | instid1(VALU_DEP_3)
	v_add_f32_e32 v55, v47, v0
	v_fmamk_f32 v61, v28, 0x3dbcf732, v34
	v_fma_f32 v34, 0x3dbcf732, v28, -v34
	s_delay_alu instid0(VALU_DEP_4)
	v_fmamk_f32 v65, v28, 0xbf7ba420, v27
	v_fma_f32 v27, 0xbf7ba420, v28, -v27
	v_fmamk_f32 v28, v29, 0x3f3d2fb0, v38
	v_fma_f32 v38, 0x3f3d2fb0, v29, -v38
	v_add_f32_e32 v34, v34, v23
	v_add_f32_e32 v61, v61, v23
	;; [unrolled: 1-line block ×6, first 2 shown]
	v_mul_f32_e32 v58, 0x3f06c442, v30
	v_add_f32_e32 v28, v38, v31
	v_add_f32_e32 v31, v66, v59
	s_delay_alu instid0(VALU_DEP_3) | instskip(SKIP_1) | instid1(VALU_DEP_2)
	v_dual_fmamk_f32 v59, v29, 0xbf59a7d5, v58 :: v_dual_add_f32 v38, v67, v60
	v_mul_f32_e32 v60, 0x3f65296c, v30
	v_dual_add_f32 v59, v59, v62 :: v_dual_fmamk_f32 v0, v29, 0xbf7ba420, v57
	v_fma_f32 v57, 0xbf7ba420, v29, -v57
	s_delay_alu instid0(VALU_DEP_2) | instskip(NEXT) | instid1(VALU_DEP_2)
	v_add_f32_e32 v0, v0, v61
	v_add_f32_e32 v34, v57, v34
	v_fma_f32 v57, 0xbf59a7d5, v29, -v58
	v_mul_f32_e32 v56, 0x3f763a35, v30
	s_delay_alu instid0(VALU_DEP_2) | instskip(NEXT) | instid1(VALU_DEP_2)
	v_dual_mul_f32 v30, 0x3eb8f4ab, v30 :: v_dual_add_f32 v35, v57, v35
	v_fmamk_f32 v58, v29, 0xbe8c1d8e, v56
	v_fma_f32 v56, 0xbe8c1d8e, v29, -v56
	s_delay_alu instid0(VALU_DEP_3) | instskip(NEXT) | instid1(VALU_DEP_3)
	v_fmamk_f32 v61, v29, 0x3f6eb680, v30
	v_dual_add_f32 v57, v58, v63 :: v_dual_fmamk_f32 v58, v29, 0x3ee437d1, v60
	s_delay_alu instid0(VALU_DEP_3) | instskip(SKIP_3) | instid1(VALU_DEP_3)
	v_add_f32_e32 v36, v56, v36
	v_sub_f32_e32 v56, v22, v46
	v_fma_f32 v60, 0x3ee437d1, v29, -v60
	v_fma_f32 v29, 0x3f6eb680, v29, -v30
	v_mul_f32_e32 v63, 0xbf65296c, v56
	s_delay_alu instid0(VALU_DEP_3) | instskip(NEXT) | instid1(VALU_DEP_3)
	v_add_f32_e32 v37, v60, v37
	v_add_f32_e32 v23, v29, v23
	;; [unrolled: 1-line block ×3, first 2 shown]
	v_dual_add_f32 v30, v61, v65 :: v_dual_mul_f32 v29, 0x3e3c28d5, v56
	s_delay_alu instid0(VALU_DEP_2) | instskip(SKIP_1) | instid1(VALU_DEP_1)
	v_fmamk_f32 v61, v62, 0x3ee437d1, v63
	v_fma_f32 v63, 0x3ee437d1, v62, -v63
	v_dual_add_f32 v27, v61, v27 :: v_dual_add_f32 v28, v63, v28
	s_delay_alu instid0(VALU_DEP_4) | instskip(SKIP_2) | instid1(VALU_DEP_2)
	v_fmamk_f32 v61, v62, 0xbf7ba420, v29
	v_mul_f32_e32 v63, 0x3f763a35, v56
	v_fma_f32 v29, 0xbf7ba420, v62, -v29
	v_dual_add_f32 v38, v61, v38 :: v_dual_fmamk_f32 v61, v62, 0xbe8c1d8e, v63
	s_delay_alu instid0(VALU_DEP_2) | instskip(SKIP_2) | instid1(VALU_DEP_1)
	v_add_f32_e32 v29, v29, v33
	v_fma_f32 v33, 0xbe8c1d8e, v62, -v63
	v_mul_f32_e32 v63, 0xbeb8f4ab, v56
	v_dual_add_f32 v33, v33, v34 :: v_dual_fmamk_f32 v34, v62, 0x3f6eb680, v63
	s_delay_alu instid0(VALU_DEP_1) | instskip(SKIP_3) | instid1(VALU_DEP_4)
	v_dual_add_f32 v34, v34, v57 :: v_dual_sub_f32 v57, v20, v42
	v_add_f32_e32 v58, v58, v64
	v_add_f32_e32 v0, v61, v0
	v_fma_f32 v61, 0x3f6eb680, v62, -v63
	v_mul_f32_e32 v65, 0xbf7ee86f, v57
	v_mul_f32_e32 v60, 0xbf4c4adb, v56
	s_delay_alu instid0(VALU_DEP_3) | instskip(NEXT) | instid1(VALU_DEP_2)
	v_add_f32_e32 v36, v61, v36
	v_fmamk_f32 v64, v62, 0xbf1a4643, v60
	v_fma_f32 v60, 0xbf1a4643, v62, -v60
	s_delay_alu instid0(VALU_DEP_2) | instskip(NEXT) | instid1(VALU_DEP_2)
	v_add_f32_e32 v31, v64, v31
	v_add_f32_e32 v32, v60, v32
	v_mul_f32_e32 v60, 0x3f2c7751, v56
	s_delay_alu instid0(VALU_DEP_1) | instskip(SKIP_1) | instid1(VALU_DEP_2)
	v_fmamk_f32 v64, v62, 0x3f3d2fb0, v60
	v_fma_f32 v60, 0x3f3d2fb0, v62, -v60
	v_add_f32_e32 v59, v64, v59
	s_delay_alu instid0(VALU_DEP_2) | instskip(SKIP_1) | instid1(VALU_DEP_1)
	v_dual_add_f32 v35, v60, v35 :: v_dual_mul_f32 v60, 0xbf7ee86f, v56
	v_mul_f32_e32 v56, 0xbf06c442, v56
	v_dual_add_f32 v64, v19, v41 :: v_dual_fmamk_f32 v63, v62, 0xbf59a7d5, v56
	v_fma_f32 v56, 0xbf59a7d5, v62, -v56
	s_delay_alu instid0(VALU_DEP_1) | instskip(SKIP_4) | instid1(VALU_DEP_3)
	v_add_f32_e32 v23, v56, v23
	v_fmamk_f32 v61, v62, 0x3dbcf732, v60
	v_fma_f32 v60, 0x3dbcf732, v62, -v60
	v_fma_f32 v56, 0x3dbcf732, v64, -v65
	v_dual_add_f32 v30, v63, v30 :: v_dual_mul_f32 v63, 0x3eb8f4ab, v57
	v_dual_add_f32 v37, v60, v37 :: v_dual_add_f32 v58, v61, v58
	v_fmamk_f32 v60, v64, 0x3dbcf732, v65
	s_delay_alu instid0(VALU_DEP_4) | instskip(NEXT) | instid1(VALU_DEP_2)
	v_dual_mul_f32 v61, 0xbe3c28d5, v57 :: v_dual_add_f32 v28, v56, v28
	v_add_f32_e32 v27, v60, v27
	s_delay_alu instid0(VALU_DEP_2) | instskip(SKIP_1) | instid1(VALU_DEP_2)
	v_fmamk_f32 v60, v64, 0xbf7ba420, v61
	v_fma_f32 v61, 0xbf7ba420, v64, -v61
	v_dual_add_f32 v31, v60, v31 :: v_dual_mul_f32 v62, 0x3f763a35, v57
	s_delay_alu instid0(VALU_DEP_2) | instskip(NEXT) | instid1(VALU_DEP_2)
	v_dual_add_f32 v32, v61, v32 :: v_dual_mul_f32 v61, 0xbf65296c, v57
	v_fmamk_f32 v56, v64, 0xbe8c1d8e, v62
	v_fma_f32 v60, 0xbe8c1d8e, v64, -v62
	v_fma_f32 v62, 0x3f6eb680, v64, -v63
	s_delay_alu instid0(VALU_DEP_3) | instskip(SKIP_1) | instid1(VALU_DEP_4)
	v_add_f32_e32 v38, v56, v38
	v_fmamk_f32 v56, v64, 0x3f6eb680, v63
	v_add_f32_e32 v29, v60, v29
	v_mul_f32_e32 v60, 0xbf06c442, v57
	v_add_f32_e32 v33, v62, v33
	s_delay_alu instid0(VALU_DEP_4) | instskip(SKIP_3) | instid1(VALU_DEP_3)
	v_dual_mul_f32 v63, 0x3f4c4adb, v57 :: v_dual_add_f32 v0, v56, v0
	v_fmamk_f32 v56, v64, 0x3ee437d1, v61
	v_fma_f32 v61, 0x3ee437d1, v64, -v61
	v_fmamk_f32 v62, v64, 0xbf59a7d5, v60
	v_dual_mul_f32 v57, 0x3f2c7751, v57 :: v_dual_add_f32 v56, v56, v59
	v_fma_f32 v59, 0xbf59a7d5, v64, -v60
	s_delay_alu instid0(VALU_DEP_4) | instskip(SKIP_1) | instid1(VALU_DEP_3)
	v_dual_add_f32 v35, v61, v35 :: v_dual_fmamk_f32 v60, v64, 0xbf1a4643, v63
	v_fma_f32 v61, 0xbf1a4643, v64, -v63
	v_dual_add_f32 v36, v59, v36 :: v_dual_sub_f32 v59, v16, v26
	s_delay_alu instid0(VALU_DEP_2) | instskip(NEXT) | instid1(VALU_DEP_2)
	v_dual_add_f32 v58, v60, v58 :: v_dual_add_f32 v37, v61, v37
	v_dual_mul_f32 v63, 0xbf763a35, v59 :: v_dual_add_f32 v34, v62, v34
	v_add_f32_e32 v62, v15, v25
	s_delay_alu instid0(VALU_DEP_1) | instskip(SKIP_3) | instid1(VALU_DEP_4)
	v_fmamk_f32 v61, v62, 0xbe8c1d8e, v63
	v_fmamk_f32 v60, v64, 0x3f3d2fb0, v57
	v_fma_f32 v57, 0x3f3d2fb0, v64, -v57
	v_fma_f32 v63, 0xbe8c1d8e, v62, -v63
	v_add_f32_e32 v27, v61, v27
	s_delay_alu instid0(VALU_DEP_3) | instskip(NEXT) | instid1(VALU_DEP_3)
	v_add_f32_e32 v23, v57, v23
	v_dual_mul_f32 v57, 0x3f2c7751, v59 :: v_dual_add_f32 v28, v63, v28
	v_mul_f32_e32 v63, 0xbf65296c, v59
	s_delay_alu instid0(VALU_DEP_2) | instskip(SKIP_1) | instid1(VALU_DEP_2)
	v_fmamk_f32 v61, v62, 0x3f3d2fb0, v57
	v_fma_f32 v57, 0x3f3d2fb0, v62, -v57
	v_dual_add_f32 v38, v61, v38 :: v_dual_fmamk_f32 v61, v62, 0x3ee437d1, v63
	s_delay_alu instid0(VALU_DEP_2) | instskip(SKIP_2) | instid1(VALU_DEP_2)
	v_add_f32_e32 v29, v57, v29
	v_fma_f32 v57, 0x3ee437d1, v62, -v63
	v_mul_f32_e32 v63, 0x3f7ee86f, v59
	v_add_f32_e32 v33, v57, v33
	s_delay_alu instid0(VALU_DEP_2) | instskip(NEXT) | instid1(VALU_DEP_1)
	v_fmamk_f32 v57, v62, 0x3dbcf732, v63
	v_dual_add_f32 v34, v57, v34 :: v_dual_mul_f32 v57, 0xbf4c4adb, v59
	v_add_f32_e32 v30, v60, v30
	v_mul_f32_e32 v60, 0x3f06c442, v59
	s_delay_alu instid0(VALU_DEP_1) | instskip(SKIP_1) | instid1(VALU_DEP_2)
	v_fmamk_f32 v64, v62, 0xbf59a7d5, v60
	v_fma_f32 v60, 0xbf59a7d5, v62, -v60
	v_add_f32_e32 v31, v64, v31
	s_delay_alu instid0(VALU_DEP_2) | instskip(SKIP_1) | instid1(VALU_DEP_1)
	v_add_f32_e32 v32, v60, v32
	v_mul_f32_e32 v60, 0xbe3c28d5, v59
	v_fmamk_f32 v64, v62, 0xbf7ba420, v60
	v_fma_f32 v60, 0xbf7ba420, v62, -v60
	s_delay_alu instid0(VALU_DEP_1) | instskip(SKIP_3) | instid1(VALU_DEP_3)
	v_add_f32_e32 v35, v60, v35
	v_dual_mul_f32 v60, 0xbeb8f4ab, v59 :: v_dual_sub_f32 v59, v12, v18
	v_add_f32_e32 v0, v61, v0
	v_add_f32_e32 v56, v64, v56
	v_dual_add_f32 v64, v11, v17 :: v_dual_mul_f32 v65, 0xbf4c4adb, v59
	v_fma_f32 v61, 0x3dbcf732, v62, -v63
	v_fmamk_f32 v63, v62, 0xbf1a4643, v57
	v_fma_f32 v57, 0xbf1a4643, v62, -v57
	s_delay_alu instid0(VALU_DEP_3) | instskip(SKIP_1) | instid1(VALU_DEP_3)
	v_dual_add_f32 v36, v61, v36 :: v_dual_fmamk_f32 v61, v62, 0x3f6eb680, v60
	v_fma_f32 v60, 0x3f6eb680, v62, -v60
	v_dual_add_f32 v23, v57, v23 :: v_dual_add_f32 v30, v63, v30
	s_delay_alu instid0(VALU_DEP_3) | instskip(NEXT) | instid1(VALU_DEP_3)
	v_dual_mul_f32 v63, 0xbf06c442, v59 :: v_dual_add_f32 v58, v61, v58
	v_add_f32_e32 v37, v60, v37
	v_fmamk_f32 v60, v64, 0xbf1a4643, v65
	v_mul_f32_e32 v61, 0x3f763a35, v59
	v_mul_f32_e32 v57, 0xbeb8f4ab, v59
	v_fma_f32 v62, 0xbf1a4643, v64, -v65
	s_delay_alu instid0(VALU_DEP_4) | instskip(NEXT) | instid1(VALU_DEP_4)
	v_add_f32_e32 v27, v60, v27
	v_fmamk_f32 v60, v64, 0xbe8c1d8e, v61
	v_fma_f32 v61, 0xbe8c1d8e, v64, -v61
	s_delay_alu instid0(VALU_DEP_2) | instskip(NEXT) | instid1(VALU_DEP_2)
	v_dual_add_f32 v28, v62, v28 :: v_dual_add_f32 v31, v60, v31
	v_add_f32_e32 v32, v61, v32
	v_fmamk_f32 v60, v64, 0xbf59a7d5, v63
	s_delay_alu instid0(VALU_DEP_1) | instskip(NEXT) | instid1(VALU_DEP_1)
	v_dual_mul_f32 v61, 0x3f7ee86f, v59 :: v_dual_add_f32 v0, v60, v0
	v_fmamk_f32 v60, v64, 0x3dbcf732, v61
	v_fma_f32 v61, 0x3dbcf732, v64, -v61
	s_delay_alu instid0(VALU_DEP_1) | instskip(SKIP_1) | instid1(VALU_DEP_1)
	v_dual_add_f32 v35, v61, v35 :: v_dual_fmamk_f32 v62, v64, 0x3f6eb680, v57
	v_fma_f32 v57, 0x3f6eb680, v64, -v57
	v_dual_add_f32 v38, v62, v38 :: v_dual_add_f32 v29, v57, v29
	v_fma_f32 v57, 0xbf59a7d5, v64, -v63
	s_delay_alu instid0(VALU_DEP_1) | instskip(NEXT) | instid1(VALU_DEP_1)
	v_dual_mul_f32 v62, 0xbf2c7751, v59 :: v_dual_add_f32 v33, v57, v33
	v_fmamk_f32 v57, v64, 0x3f3d2fb0, v62
	v_fma_f32 v62, 0x3f3d2fb0, v64, -v62
	s_delay_alu instid0(VALU_DEP_2) | instskip(SKIP_2) | instid1(VALU_DEP_4)
	v_add_f32_e32 v34, v57, v34
	v_dual_sub_f32 v57, v6, v14 :: v_dual_add_f32 v56, v60, v56
	v_mul_f32_e32 v60, 0xbe3c28d5, v59
	v_dual_mul_f32 v59, 0x3f65296c, v59 :: v_dual_add_f32 v36, v62, v36
	v_add_f32_e32 v62, v5, v13
	s_delay_alu instid0(VALU_DEP_4) | instskip(NEXT) | instid1(VALU_DEP_4)
	v_mul_f32_e32 v63, 0xbf06c442, v57
	v_fmamk_f32 v61, v64, 0xbf7ba420, v60
	v_fma_f32 v60, 0xbf7ba420, v64, -v60
	s_delay_alu instid0(VALU_DEP_1) | instskip(NEXT) | instid1(VALU_DEP_4)
	v_dual_add_f32 v58, v61, v58 :: v_dual_add_f32 v37, v60, v37
	v_fmamk_f32 v60, v62, 0xbf59a7d5, v63
	v_mul_f32_e32 v61, 0x3f65296c, v57
	s_delay_alu instid0(VALU_DEP_2) | instskip(SKIP_2) | instid1(VALU_DEP_1)
	v_add_f32_e32 v27, v60, v27
	v_fmamk_f32 v65, v64, 0x3ee437d1, v59
	v_fma_f32 v59, 0x3ee437d1, v64, -v59
	v_add_f32_e32 v23, v59, v23
	v_fma_f32 v59, 0xbf59a7d5, v62, -v63
	v_mul_f32_e32 v60, 0xbf7ee86f, v57
	v_fmamk_f32 v63, v62, 0x3ee437d1, v61
	v_fma_f32 v61, 0x3ee437d1, v62, -v61
	s_delay_alu instid0(VALU_DEP_4) | instskip(NEXT) | instid1(VALU_DEP_3)
	v_dual_add_f32 v28, v59, v28 :: v_dual_mul_f32 v59, 0x3f4c4adb, v57
	v_dual_fmamk_f32 v64, v62, 0x3dbcf732, v60 :: v_dual_add_f32 v31, v63, v31
	s_delay_alu instid0(VALU_DEP_3) | instskip(SKIP_1) | instid1(VALU_DEP_4)
	v_add_f32_e32 v32, v61, v32
	v_fma_f32 v60, 0x3dbcf732, v62, -v60
	v_fmamk_f32 v61, v62, 0xbf1a4643, v59
	s_delay_alu instid0(VALU_DEP_4) | instskip(SKIP_1) | instid1(VALU_DEP_3)
	v_dual_mul_f32 v63, 0xbeb8f4ab, v57 :: v_dual_add_f32 v38, v64, v38
	v_fma_f32 v59, 0xbf1a4643, v62, -v59
	v_dual_add_f32 v29, v60, v29 :: v_dual_add_f32 v60, v61, v0
	s_delay_alu instid0(VALU_DEP_3) | instskip(NEXT) | instid1(VALU_DEP_3)
	v_fmamk_f32 v61, v62, 0x3f6eb680, v63
	v_add_f32_e32 v33, v59, v33
	v_fma_f32 v59, 0x3f6eb680, v62, -v63
	s_delay_alu instid0(VALU_DEP_3) | instskip(SKIP_1) | instid1(VALU_DEP_3)
	v_dual_mul_f32 v63, 0x3f2c7751, v57 :: v_dual_add_f32 v56, v61, v56
	v_mul_f32_e32 v0, 0xbe3c28d5, v57
	v_dual_add_f32 v30, v65, v30 :: v_dual_add_f32 v35, v59, v35
	s_delay_alu instid0(VALU_DEP_3) | instskip(SKIP_1) | instid1(VALU_DEP_4)
	v_fmamk_f32 v59, v62, 0x3f3d2fb0, v63
	v_mul_f32_e32 v57, 0xbf763a35, v57
	v_fmamk_f32 v64, v62, 0xbf7ba420, v0
	v_fma_f32 v0, 0xbf7ba420, v62, -v0
	v_sub_f32_e32 v61, v8, v10
	s_delay_alu instid0(VALU_DEP_4) | instskip(NEXT) | instid1(VALU_DEP_4)
	v_dual_add_f32 v59, v59, v58 :: v_dual_fmamk_f32 v58, v62, 0xbe8c1d8e, v57
	v_add_f32_e32 v34, v64, v34
	s_delay_alu instid0(VALU_DEP_4)
	v_add_f32_e32 v36, v0, v36
	v_fma_f32 v0, 0x3f3d2fb0, v62, -v63
	v_add_f32_e32 v63, v7, v9
	v_mul_f32_e32 v64, 0xbe3c28d5, v61
	v_add_f32_e32 v30, v58, v30
	v_mad_u32_u24 v65, 0x44, v52, 0
	v_add_f32_e32 v37, v0, v37
	v_mul_f32_e32 v0, 0x3eb8f4ab, v61
	v_fmamk_f32 v58, v63, 0xbf7ba420, v64
	s_delay_alu instid0(VALU_DEP_1) | instskip(SKIP_1) | instid1(VALU_DEP_4)
	v_add_f32_e32 v27, v58, v27
	v_fma_f32 v57, 0xbe8c1d8e, v62, -v57
	v_fmamk_f32 v62, v63, 0x3f6eb680, v0
	v_fma_f32 v0, 0x3f6eb680, v63, -v0
	s_delay_alu instid0(VALU_DEP_3) | instskip(SKIP_1) | instid1(VALU_DEP_1)
	v_add_f32_e32 v23, v57, v23
	v_fma_f32 v57, 0xbf7ba420, v63, -v64
	v_dual_mul_f32 v64, 0xbf06c442, v61 :: v_dual_add_f32 v57, v57, v28
	s_delay_alu instid0(VALU_DEP_1)
	v_dual_add_f32 v28, v62, v31 :: v_dual_fmamk_f32 v31, v63, 0xbf59a7d5, v64
	v_add_f32_e32 v58, v0, v32
	v_fma_f32 v0, 0xbf59a7d5, v63, -v64
	v_mul_f32_e32 v32, 0xbf4c4adb, v61
	v_mul_f32_e32 v62, 0x3f2c7751, v61
	;; [unrolled: 1-line block ×3, first 2 shown]
	s_delay_alu instid0(VALU_DEP_3) | instskip(SKIP_4) | instid1(VALU_DEP_4)
	v_dual_add_f32 v0, v0, v29 :: v_dual_fmamk_f32 v29, v63, 0xbf1a4643, v32
	v_fma_f32 v32, 0xbf1a4643, v63, -v32
	v_add_f32_e32 v31, v31, v38
	v_fmamk_f32 v38, v63, 0x3f3d2fb0, v62
	v_fma_f32 v62, 0x3f3d2fb0, v63, -v62
	v_dual_add_f32 v32, v32, v35 :: v_dual_mul_f32 v35, 0x3f7ee86f, v61
	s_delay_alu instid0(VALU_DEP_3) | instskip(SKIP_1) | instid1(VALU_DEP_4)
	v_add_f32_e32 v38, v38, v60
	v_mul_f32_e32 v60, 0xbf763a35, v61
	v_add_f32_e32 v33, v62, v33
	v_add_f32_e32 v29, v29, v56
	v_fmamk_f32 v61, v63, 0x3dbcf732, v35
	v_fma_f32 v35, 0x3dbcf732, v63, -v35
	v_fmamk_f32 v56, v63, 0x3ee437d1, v64
	v_fma_f32 v62, 0x3ee437d1, v63, -v64
                                        ; implicit-def: $vgpr64
	s_delay_alu instid0(VALU_DEP_3) | instskip(NEXT) | instid1(VALU_DEP_3)
	v_add_f32_e32 v35, v35, v23
	v_dual_add_f32 v34, v56, v34 :: v_dual_lshlrev_b32 v23, 6, v52
	v_fmamk_f32 v56, v63, 0xbe8c1d8e, v60
	v_fma_f32 v60, 0xbe8c1d8e, v63, -v60
	v_add_f32_e32 v36, v62, v36
	s_delay_alu instid0(VALU_DEP_4) | instskip(NEXT) | instid1(VALU_DEP_4)
	v_sub_nc_u32_e32 v23, v65, v23
                                        ; implicit-def: $vgpr62
                                        ; implicit-def: $vgpr63
	v_add_f32_e32 v56, v56, v59
	s_delay_alu instid0(VALU_DEP_4)
	v_add_f32_e32 v37, v60, v37
	ds_store_2addr_b32 v65, v55, v27 offset1:1
	ds_store_2addr_b32 v65, v28, v31 offset0:2 offset1:3
	ds_store_2addr_b32 v65, v38, v29 offset0:4 offset1:5
	;; [unrolled: 1-line block ×3, first 2 shown]
	v_add_nc_u32_e32 v71, 0x1a00, v23
	v_add_nc_u32_e32 v66, 0x400, v23
	v_dual_add_f32 v30, v61, v30 :: v_dual_add_nc_u32 v67, 0x800, v23
	v_add_nc_u32_e32 v68, 0xc00, v23
	v_add_nc_u32_e32 v69, 0x1000, v23
	v_add_nc_u32_e32 v70, 0x1600, v23
	v_lshl_add_u32 v56, v53, 2, 0
	ds_store_2addr_b32 v65, v30, v35 offset0:8 offset1:9
	ds_store_2addr_b32 v65, v37, v36 offset0:10 offset1:11
	;; [unrolled: 1-line block ×4, first 2 shown]
	ds_store_b32 v65, v57 offset:64
	global_wb scope:SCOPE_SE
	s_wait_dscnt 0x0
	s_wait_kmcnt 0x0
	s_barrier_signal -1
	s_barrier_wait -1
	global_inv scope:SCOPE_SE
	ds_load_2addr_b32 v[35:36], v66 offset0:33 offset1:152
	ds_load_2addr_b32 v[37:38], v67 offset0:66 offset1:185
	;; [unrolled: 1-line block ×6, first 2 shown]
	ds_load_b32 v60, v23
	ds_load_b32 v59, v56
	v_lshl_add_u32 v55, v54, 2, 0
                                        ; implicit-def: $vgpr61
	s_and_saveexec_b32 s1, s0
	s_cbranch_execz .LBB0_15
; %bb.14:
	ds_load_b32 v58, v23 offset:2108
	ds_load_b32 v57, v23 offset:3264
	;; [unrolled: 1-line block ×5, first 2 shown]
	ds_load_b32 v0, v55
	ds_load_b32 v62, v23 offset:7888
.LBB0_15:
	s_wait_alu 0xfffe
	s_or_b32 exec_lo, exec_lo, s1
	v_dual_add_f32 v72, v44, v24 :: v_dual_sub_f32 v43, v43, v47
	v_add_f32_e32 v47, v40, v50
	v_dual_add_f32 v44, v44, v48 :: v_dual_sub_f32 v39, v39, v49
	s_delay_alu instid0(VALU_DEP_3) | instskip(SKIP_2) | instid1(VALU_DEP_3)
	v_dual_add_f32 v40, v40, v72 :: v_dual_mul_f32 v49, 0xbeb8f4ab, v43
	v_mul_f32_e32 v73, 0xbf65296c, v43
	v_dual_mul_f32 v72, 0xbf2c7751, v43 :: v_dual_sub_f32 v11, v11, v17
	v_dual_add_f32 v40, v22, v40 :: v_dual_mul_f32 v75, 0xbf763a35, v43
	s_delay_alu instid0(VALU_DEP_4) | instskip(SKIP_2) | instid1(VALU_DEP_4)
	v_fma_f32 v83, 0x3f6eb680, v44, -v49
	v_mul_f32_e32 v74, 0xbf7ee86f, v43
	v_fma_f32 v85, 0x3ee437d1, v44, -v73
	v_dual_add_f32 v40, v20, v40 :: v_dual_mul_f32 v77, 0xbf06c442, v43
	s_delay_alu instid0(VALU_DEP_4) | instskip(SKIP_2) | instid1(VALU_DEP_4)
	v_add_f32_e32 v83, v83, v24
	v_fmac_f32_e32 v49, 0x3f6eb680, v44
	v_mul_f32_e32 v76, 0xbf4c4adb, v43
	v_dual_add_f32 v40, v16, v40 :: v_dual_mul_f32 v43, 0xbe3c28d5, v43
	v_fma_f32 v86, 0x3dbcf732, v44, -v74
	v_fma_f32 v89, 0xbf59a7d5, v44, -v77
	v_add_f32_e32 v49, v49, v24
	s_delay_alu instid0(VALU_DEP_4) | instskip(SKIP_1) | instid1(VALU_DEP_4)
	v_dual_add_f32 v40, v12, v40 :: v_dual_mul_f32 v79, 0xbf7ee86f, v39
	v_fmac_f32_e32 v73, 0x3ee437d1, v44
	v_dual_mul_f32 v80, 0xbf4c4adb, v39 :: v_dual_add_f32 v89, v89, v24
	s_delay_alu instid0(VALU_DEP_3) | instskip(SKIP_1) | instid1(VALU_DEP_4)
	v_dual_add_f32 v40, v6, v40 :: v_dual_mul_f32 v81, 0xbe3c28d5, v39
	v_fmac_f32_e32 v74, 0x3dbcf732, v44
	v_add_f32_e32 v73, v73, v24
	s_delay_alu instid0(VALU_DEP_4) | instskip(NEXT) | instid1(VALU_DEP_4)
	v_fma_f32 v92, 0xbf1a4643, v47, -v80
	v_add_f32_e32 v40, v8, v40
	v_fmac_f32_e32 v80, 0xbf1a4643, v47
	v_add_f32_e32 v86, v86, v24
	v_fmac_f32_e32 v77, 0xbf59a7d5, v44
	v_fma_f32 v87, 0xbe8c1d8e, v44, -v75
	v_add_f32_e32 v40, v10, v40
	v_fma_f32 v90, 0xbf7ba420, v44, -v43
	v_fma_f32 v91, 0x3dbcf732, v47, -v79
	v_dual_fmac_f32 v79, 0x3dbcf732, v47 :: v_dual_add_f32 v74, v74, v24
	s_delay_alu instid0(VALU_DEP_4) | instskip(SKIP_3) | instid1(VALU_DEP_4)
	v_add_f32_e32 v40, v14, v40
	v_fmac_f32_e32 v43, 0xbf7ba420, v44
	v_dual_add_f32 v77, v77, v24 :: v_dual_mul_f32 v78, 0xbf2c7751, v39
	v_add_f32_e32 v85, v85, v24
	v_add_f32_e32 v40, v18, v40
	v_dual_mul_f32 v82, 0x3f06c442, v39 :: v_dual_add_f32 v87, v87, v24
	v_fma_f32 v84, 0x3f3d2fb0, v44, -v72
	v_dual_fmac_f32 v72, 0x3f3d2fb0, v44 :: v_dual_add_f32 v73, v80, v73
	s_delay_alu instid0(VALU_DEP_4)
	v_add_f32_e32 v40, v26, v40
	v_fmac_f32_e32 v75, 0xbe8c1d8e, v44
	v_fma_f32 v88, 0xbf1a4643, v44, -v76
	v_fmac_f32_e32 v76, 0xbf1a4643, v44
	v_add_f32_e32 v43, v43, v24
	v_add_f32_e32 v40, v42, v40
	v_fma_f32 v44, 0x3f3d2fb0, v47, -v78
	v_dual_fmac_f32 v78, 0x3f3d2fb0, v47 :: v_dual_add_f32 v75, v75, v24
	v_add_f32_e32 v84, v84, v24
	s_delay_alu instid0(VALU_DEP_4)
	v_add_f32_e32 v40, v46, v40
	v_dual_add_f32 v72, v72, v24 :: v_dual_sub_f32 v21, v21, v45
	v_add_f32_e32 v76, v76, v24
	v_add_f32_e32 v90, v90, v24
	;; [unrolled: 1-line block ×7, first 2 shown]
	v_mul_f32_e32 v78, 0x3f763a35, v39
	v_fma_f32 v79, 0xbf59a7d5, v47, -v82
	v_add_f32_e32 v24, v48, v24
	v_fma_f32 v48, 0xbf7ba420, v47, -v81
	v_fmac_f32_e32 v81, 0xbf7ba420, v47
	v_fmac_f32_e32 v82, 0xbf59a7d5, v47
	v_fma_f32 v80, 0xbe8c1d8e, v47, -v78
	v_fmac_f32_e32 v78, 0xbe8c1d8e, v47
	v_add_f32_e32 v44, v44, v83
	s_delay_alu instid0(VALU_DEP_4)
	v_dual_add_f32 v74, v81, v74 :: v_dual_add_f32 v75, v82, v75
	v_add_f32_e32 v49, v91, v84
	v_mul_f32_e32 v81, 0x3f65296c, v39
	v_dual_mul_f32 v39, 0x3eb8f4ab, v39 :: v_dual_add_f32 v76, v78, v76
	v_mul_f32_e32 v46, 0xbf65296c, v21
	v_add_f32_e32 v72, v92, v85
	s_delay_alu instid0(VALU_DEP_4)
	v_fma_f32 v45, 0x3ee437d1, v47, -v81
	v_fmac_f32_e32 v81, 0x3ee437d1, v47
	v_fma_f32 v78, 0x3f6eb680, v47, -v39
	v_fmac_f32_e32 v39, 0x3f6eb680, v47
	v_add_f32_e32 v79, v79, v87
	v_add_f32_e32 v45, v45, v89
	;; [unrolled: 1-line block ×3, first 2 shown]
	v_mul_f32_e32 v81, 0xbf4c4adb, v21
	v_add_f32_e32 v39, v39, v43
	v_mul_f32_e32 v43, 0x3e3c28d5, v21
	v_add_f32_e32 v77, v78, v90
	v_fma_f32 v78, 0x3ee437d1, v22, -v46
	v_fmac_f32_e32 v46, 0x3ee437d1, v22
	v_mul_f32_e32 v82, 0x3f763a35, v21
	v_dual_add_f32 v48, v48, v86 :: v_dual_sub_f32 v19, v19, v41
	v_add_f32_e32 v20, v20, v42
	s_delay_alu instid0(VALU_DEP_4) | instskip(SKIP_3) | instid1(VALU_DEP_2)
	v_add_f32_e32 v40, v46, v40
	v_fma_f32 v46, 0xbf7ba420, v22, -v43
	v_dual_fmac_f32 v43, 0xbf7ba420, v22 :: v_dual_add_f32 v80, v80, v88
	v_dual_mul_f32 v42, 0xbf7ee86f, v19 :: v_dual_sub_f32 v15, v15, v25
	v_dual_add_f32 v46, v46, v72 :: v_dual_add_f32 v43, v43, v73
	v_dual_mul_f32 v73, 0xbeb8f4ab, v21 :: v_dual_add_f32 v44, v78, v44
	v_fma_f32 v78, 0xbf1a4643, v22, -v81
	v_fma_f32 v72, 0xbe8c1d8e, v22, -v82
	v_add_f32_e32 v16, v16, v26
	v_add_f32_e32 v12, v12, v18
	global_wb scope:SCOPE_SE
	s_wait_dscnt 0x0
	v_add_f32_e32 v49, v78, v49
	v_mul_f32_e32 v78, 0x3f2c7751, v21
	v_fmac_f32_e32 v82, 0xbe8c1d8e, v22
	v_add_f32_e32 v48, v72, v48
	s_barrier_signal -1
	s_barrier_wait -1
	global_inv scope:SCOPE_SE
	v_add_f32_e32 v74, v82, v74
	v_mul_f32_e32 v82, 0xbf7ee86f, v21
	v_mul_f32_e32 v21, 0xbf06c442, v21
	v_fma_f32 v72, 0x3f3d2fb0, v22, -v78
	v_fmac_f32_e32 v81, 0xbf1a4643, v22
	v_mul_f32_e32 v18, 0xbf4c4adb, v11
	v_add_f32_e32 v6, v6, v14
	v_add_f32_e32 v8, v8, v10
	;; [unrolled: 1-line block ×3, first 2 shown]
	v_fma_f32 v79, 0x3dbcf732, v22, -v82
	v_add_f32_e32 v50, v81, v50
	v_fma_f32 v81, 0x3f6eb680, v22, -v73
	v_fmac_f32_e32 v73, 0x3f6eb680, v22
	v_sub_f32_e32 v7, v7, v9
	v_add_f32_e32 v41, v79, v45
	v_fma_f32 v45, 0xbf59a7d5, v22, -v21
	v_fmac_f32_e32 v21, 0xbf59a7d5, v22
	v_add_f32_e32 v73, v73, v76
	v_fma_f32 v76, 0x3dbcf732, v20, -v42
	v_fmac_f32_e32 v42, 0x3dbcf732, v20
	s_delay_alu instid0(VALU_DEP_4) | instskip(NEXT) | instid1(VALU_DEP_3)
	v_dual_fmac_f32 v82, 0x3dbcf732, v22 :: v_dual_add_f32 v21, v21, v39
	v_dual_mul_f32 v39, 0x3f763a35, v19 :: v_dual_add_f32 v44, v76, v44
	s_delay_alu instid0(VALU_DEP_3) | instskip(NEXT) | instid1(VALU_DEP_3)
	v_add_f32_e32 v40, v42, v40
	v_add_f32_e32 v47, v82, v47
	v_mul_f32_e32 v76, 0x3eb8f4ab, v19
	s_delay_alu instid0(VALU_DEP_4) | instskip(SKIP_2) | instid1(VALU_DEP_3)
	v_fma_f32 v42, 0xbe8c1d8e, v20, -v39
	v_fmac_f32_e32 v39, 0xbe8c1d8e, v20
	v_mul_f32_e32 v10, 0xbe3c28d5, v7
	v_add_f32_e32 v42, v42, v46
	s_delay_alu instid0(VALU_DEP_3) | instskip(SKIP_2) | instid1(VALU_DEP_3)
	v_dual_fmac_f32 v78, 0x3f3d2fb0, v22 :: v_dual_add_f32 v39, v39, v43
	v_dual_mul_f32 v43, 0xbf06c442, v19 :: v_dual_add_f32 v22, v45, v77
	v_mul_f32_e32 v45, 0xbe3c28d5, v19
	v_dual_add_f32 v75, v78, v75 :: v_dual_add_f32 v78, v81, v80
	v_mul_f32_e32 v46, 0xbf65296c, v19
	s_delay_alu instid0(VALU_DEP_3) | instskip(NEXT) | instid1(VALU_DEP_1)
	v_fma_f32 v77, 0xbf7ba420, v20, -v45
	v_add_f32_e32 v49, v77, v49
	s_delay_alu instid0(VALU_DEP_3) | instskip(SKIP_1) | instid1(VALU_DEP_1)
	v_fma_f32 v77, 0x3ee437d1, v20, -v46
	v_fmac_f32_e32 v46, 0x3ee437d1, v20
	v_add_f32_e32 v46, v46, v75
	v_mul_f32_e32 v75, 0x3f4c4adb, v19
	v_fmac_f32_e32 v45, 0xbf7ba420, v20
	v_dual_mul_f32 v19, 0x3f2c7751, v19 :: v_dual_add_f32 v72, v77, v72
	s_delay_alu instid0(VALU_DEP_3) | instskip(NEXT) | instid1(VALU_DEP_3)
	v_fma_f32 v25, 0xbf1a4643, v20, -v75
	v_add_f32_e32 v45, v45, v50
	v_fma_f32 v50, 0x3f6eb680, v20, -v76
	v_fmac_f32_e32 v76, 0x3f6eb680, v20
	v_fmac_f32_e32 v75, 0xbf1a4643, v20
	s_delay_alu instid0(VALU_DEP_3) | instskip(NEXT) | instid1(VALU_DEP_3)
	v_dual_add_f32 v25, v25, v41 :: v_dual_add_f32 v48, v50, v48
	v_add_f32_e32 v50, v76, v74
	v_fma_f32 v74, 0xbf59a7d5, v20, -v43
	v_fmac_f32_e32 v43, 0xbf59a7d5, v20
	s_delay_alu instid0(VALU_DEP_1) | instskip(SKIP_2) | instid1(VALU_DEP_3)
	v_dual_mul_f32 v26, 0xbf763a35, v15 :: v_dual_add_f32 v43, v43, v73
	v_fma_f32 v73, 0x3f3d2fb0, v20, -v19
	v_fmac_f32_e32 v19, 0x3f3d2fb0, v20
	v_fma_f32 v41, 0xbe8c1d8e, v16, -v26
	s_delay_alu instid0(VALU_DEP_2) | instskip(SKIP_4) | instid1(VALU_DEP_2)
	v_add_f32_e32 v19, v19, v21
	v_mul_f32_e32 v21, 0x3f2c7751, v15
	v_add_f32_e32 v20, v75, v47
	v_dual_mul_f32 v47, 0x3f06c442, v15 :: v_dual_add_f32 v74, v74, v78
	v_add_f32_e32 v41, v41, v44
	v_fma_f32 v44, 0xbf59a7d5, v16, -v47
	v_fmac_f32_e32 v47, 0xbf59a7d5, v16
	s_delay_alu instid0(VALU_DEP_1) | instskip(SKIP_4) | instid1(VALU_DEP_3)
	v_add_f32_e32 v45, v47, v45
	v_mul_f32_e32 v47, 0xbe3c28d5, v15
	v_fmac_f32_e32 v26, 0xbe8c1d8e, v16
	v_dual_add_f32 v22, v73, v22 :: v_dual_mul_f32 v73, 0xbf65296c, v15
	v_add_f32_e32 v44, v44, v49
	v_add_f32_e32 v26, v26, v40
	v_fma_f32 v40, 0x3f3d2fb0, v16, -v21
	s_delay_alu instid0(VALU_DEP_1) | instskip(SKIP_2) | instid1(VALU_DEP_3)
	v_dual_fmac_f32 v21, 0x3f3d2fb0, v16 :: v_dual_add_f32 v40, v40, v42
	v_fma_f32 v42, 0x3ee437d1, v16, -v73
	v_fmac_f32_e32 v73, 0x3ee437d1, v16
	v_add_f32_e32 v21, v21, v39
	s_delay_alu instid0(VALU_DEP_3) | instskip(SKIP_1) | instid1(VALU_DEP_4)
	v_dual_mul_f32 v39, 0x3f7ee86f, v15 :: v_dual_add_f32 v42, v42, v48
	v_fma_f32 v48, 0xbf7ba420, v16, -v47
	v_add_f32_e32 v49, v73, v50
	v_fmac_f32_e32 v47, 0xbf7ba420, v16
	s_delay_alu instid0(VALU_DEP_4) | instskip(SKIP_2) | instid1(VALU_DEP_4)
	v_fma_f32 v50, 0x3dbcf732, v16, -v39
	v_mul_f32_e32 v73, 0xbeb8f4ab, v15
	v_mul_f32_e32 v15, 0xbf4c4adb, v15
	v_dual_fmac_f32 v39, 0x3dbcf732, v16 :: v_dual_add_f32 v46, v47, v46
	s_delay_alu instid0(VALU_DEP_4) | instskip(NEXT) | instid1(VALU_DEP_4)
	v_add_f32_e32 v47, v50, v74
	v_fma_f32 v50, 0x3f6eb680, v16, -v73
	s_delay_alu instid0(VALU_DEP_3) | instskip(NEXT) | instid1(VALU_DEP_2)
	v_dual_add_f32 v48, v48, v72 :: v_dual_add_f32 v39, v39, v43
	v_add_f32_e32 v17, v50, v25
	v_fma_f32 v25, 0xbf1a4643, v16, -v15
	v_fmac_f32_e32 v73, 0x3f6eb680, v16
	s_delay_alu instid0(VALU_DEP_2) | instskip(SKIP_2) | instid1(VALU_DEP_2)
	v_dual_fmac_f32 v15, 0xbf1a4643, v16 :: v_dual_add_f32 v16, v25, v22
	v_fma_f32 v25, 0xbf1a4643, v12, -v18
	v_mul_f32_e32 v22, 0x3f763a35, v11
	v_dual_fmac_f32 v18, 0xbf1a4643, v12 :: v_dual_add_f32 v25, v25, v41
	s_delay_alu instid0(VALU_DEP_2) | instskip(NEXT) | instid1(VALU_DEP_2)
	v_fma_f32 v43, 0xbe8c1d8e, v12, -v22
	v_add_f32_e32 v18, v18, v26
	v_dual_add_f32 v20, v73, v20 :: v_dual_add_f32 v15, v15, v19
	s_delay_alu instid0(VALU_DEP_3) | instskip(SKIP_1) | instid1(VALU_DEP_1)
	v_add_f32_e32 v41, v43, v44
	v_mul_f32_e32 v43, 0xbf06c442, v11
	v_fma_f32 v44, 0xbf59a7d5, v12, -v43
	v_fmac_f32_e32 v43, 0xbf59a7d5, v12
	v_fmac_f32_e32 v22, 0xbe8c1d8e, v12
	s_delay_alu instid0(VALU_DEP_2) | instskip(NEXT) | instid1(VALU_DEP_2)
	v_dual_add_f32 v42, v44, v42 :: v_dual_add_f32 v43, v43, v49
	v_dual_mul_f32 v19, 0xbeb8f4ab, v11 :: v_dual_add_f32 v22, v22, v45
	s_delay_alu instid0(VALU_DEP_1) | instskip(SKIP_1) | instid1(VALU_DEP_1)
	v_fma_f32 v26, 0x3f6eb680, v12, -v19
	v_fmac_f32_e32 v19, 0x3f6eb680, v12
	v_dual_add_f32 v26, v26, v40 :: v_dual_add_f32 v19, v19, v21
	v_mul_f32_e32 v21, 0xbf2c7751, v11
	v_mul_f32_e32 v40, 0x3f7ee86f, v11
	s_delay_alu instid0(VALU_DEP_2) | instskip(NEXT) | instid1(VALU_DEP_2)
	v_fma_f32 v44, 0x3f3d2fb0, v12, -v21
	v_fma_f32 v45, 0x3dbcf732, v12, -v40
	s_delay_alu instid0(VALU_DEP_2) | instskip(NEXT) | instid1(VALU_DEP_1)
	v_dual_fmac_f32 v21, 0x3f3d2fb0, v12 :: v_dual_add_f32 v44, v44, v47
	v_dual_fmac_f32 v40, 0x3dbcf732, v12 :: v_dual_add_f32 v21, v21, v39
	s_delay_alu instid0(VALU_DEP_1) | instskip(SKIP_1) | instid1(VALU_DEP_1)
	v_dual_add_f32 v45, v45, v48 :: v_dual_add_f32 v40, v40, v46
	v_dual_mul_f32 v46, 0xbe3c28d5, v11 :: v_dual_sub_f32 v5, v5, v13
	v_fma_f32 v13, 0xbf7ba420, v12, -v46
	v_fmac_f32_e32 v46, 0xbf7ba420, v12
	v_mul_f32_e32 v11, 0x3f65296c, v11
	s_delay_alu instid0(VALU_DEP_1) | instskip(SKIP_3) | instid1(VALU_DEP_4)
	v_fma_f32 v39, 0x3ee437d1, v12, -v11
	v_fmac_f32_e32 v11, 0x3ee437d1, v12
	v_mul_f32_e32 v14, 0xbf06c442, v5
	v_dual_add_f32 v13, v13, v17 :: v_dual_add_f32 v12, v46, v20
	v_add_f32_e32 v16, v39, v16
	s_delay_alu instid0(VALU_DEP_4) | instskip(NEXT) | instid1(VALU_DEP_4)
	v_add_f32_e32 v11, v11, v15
	v_fma_f32 v17, 0xbf59a7d5, v6, -v14
	s_delay_alu instid0(VALU_DEP_1) | instskip(NEXT) | instid1(VALU_DEP_1)
	v_dual_fmac_f32 v14, 0xbf59a7d5, v6 :: v_dual_add_f32 v17, v17, v25
	v_dual_mul_f32 v15, 0xbf7ee86f, v5 :: v_dual_add_f32 v14, v14, v18
	s_delay_alu instid0(VALU_DEP_1) | instskip(SKIP_2) | instid1(VALU_DEP_2)
	v_fma_f32 v18, 0x3dbcf732, v6, -v15
	v_fmac_f32_e32 v15, 0x3dbcf732, v6
	v_mul_f32_e32 v20, 0x3f65296c, v5
	v_dual_add_f32 v18, v18, v26 :: v_dual_add_f32 v15, v15, v19
	s_delay_alu instid0(VALU_DEP_2) | instskip(SKIP_3) | instid1(VALU_DEP_3)
	v_fma_f32 v25, 0x3ee437d1, v6, -v20
	v_fmac_f32_e32 v20, 0x3ee437d1, v6
	v_mul_f32_e32 v39, 0x3f4c4adb, v5
	v_mul_f32_e32 v19, 0xbe3c28d5, v5
	v_dual_add_f32 v25, v25, v41 :: v_dual_add_f32 v20, v20, v22
	s_delay_alu instid0(VALU_DEP_3) | instskip(NEXT) | instid1(VALU_DEP_1)
	v_fma_f32 v22, 0xbf1a4643, v6, -v39
	v_dual_mul_f32 v26, 0xbeb8f4ab, v5 :: v_dual_add_f32 v41, v22, v42
	s_delay_alu instid0(VALU_DEP_1) | instskip(SKIP_3) | instid1(VALU_DEP_4)
	v_fma_f32 v22, 0x3f6eb680, v6, -v26
	v_fmac_f32_e32 v26, 0x3f6eb680, v6
	v_fma_f32 v42, 0xbf7ba420, v6, -v19
	v_fmac_f32_e32 v39, 0xbf1a4643, v6
	v_add_f32_e32 v45, v22, v45
	s_delay_alu instid0(VALU_DEP_4) | instskip(NEXT) | instid1(VALU_DEP_3)
	v_add_f32_e32 v26, v26, v40
	v_dual_add_f32 v40, v42, v44 :: v_dual_add_f32 v39, v39, v43
	v_mul_f32_e32 v43, 0x3f2c7751, v5
	v_mul_f32_e32 v5, 0xbf763a35, v5
                                        ; implicit-def: $vgpr42
                                        ; implicit-def: $vgpr44
	s_delay_alu instid0(VALU_DEP_2) | instskip(SKIP_2) | instid1(VALU_DEP_3)
	v_fma_f32 v22, 0x3f3d2fb0, v6, -v43
	v_fmac_f32_e32 v43, 0x3f3d2fb0, v6
	v_fmac_f32_e32 v19, 0xbf7ba420, v6
	v_add_f32_e32 v9, v22, v13
	v_fma_f32 v13, 0xbe8c1d8e, v6, -v5
	s_delay_alu instid0(VALU_DEP_4) | instskip(NEXT) | instid1(VALU_DEP_4)
	v_add_f32_e32 v12, v43, v12
	v_add_f32_e32 v21, v19, v21
	v_fmac_f32_e32 v5, 0xbe8c1d8e, v6
                                        ; implicit-def: $vgpr43
	s_delay_alu instid0(VALU_DEP_4) | instskip(SKIP_2) | instid1(VALU_DEP_2)
	v_add_f32_e32 v6, v13, v16
	v_fma_f32 v16, 0xbf7ba420, v8, -v10
	v_fmac_f32_e32 v10, 0xbf7ba420, v8
	v_dual_mul_f32 v13, 0x3eb8f4ab, v7 :: v_dual_add_f32 v16, v16, v17
	s_delay_alu instid0(VALU_DEP_2) | instskip(NEXT) | instid1(VALU_DEP_2)
	v_add_f32_e32 v22, v10, v14
	v_fma_f32 v19, 0x3f6eb680, v8, -v13
	s_delay_alu instid0(VALU_DEP_1) | instskip(SKIP_2) | instid1(VALU_DEP_1)
	v_dual_mul_f32 v17, 0x3f2c7751, v7 :: v_dual_add_f32 v14, v19, v25
	v_add_f32_e32 v5, v5, v11
	v_mul_f32_e32 v11, 0xbf06c442, v7
	v_fma_f32 v10, 0xbf59a7d5, v8, -v11
	s_delay_alu instid0(VALU_DEP_1) | instskip(SKIP_2) | instid1(VALU_DEP_3)
	v_dual_fmac_f32 v11, 0xbf59a7d5, v8 :: v_dual_add_f32 v10, v10, v18
	v_fma_f32 v18, 0x3f3d2fb0, v8, -v17
	v_fmac_f32_e32 v17, 0x3f3d2fb0, v8
	v_add_f32_e32 v19, v11, v15
	s_delay_alu instid0(VALU_DEP_3) | instskip(SKIP_1) | instid1(VALU_DEP_4)
	v_dual_mul_f32 v11, 0x3f65296c, v7 :: v_dual_add_f32 v18, v18, v41
	v_fmac_f32_e32 v13, 0x3f6eb680, v8
	v_add_f32_e32 v17, v17, v39
	v_mul_f32_e32 v39, 0xbf763a35, v7
	s_delay_alu instid0(VALU_DEP_3) | instskip(SKIP_4) | instid1(VALU_DEP_4)
	v_add_f32_e32 v25, v13, v20
	v_mul_f32_e32 v13, 0xbf4c4adb, v7
	v_fma_f32 v20, 0x3ee437d1, v8, -v11
	v_mul_f32_e32 v7, 0x3f7ee86f, v7
	v_fmac_f32_e32 v11, 0x3ee437d1, v8
	v_fma_f32 v15, 0xbf1a4643, v8, -v13
	v_fmac_f32_e32 v13, 0xbf1a4643, v8
	v_add_f32_e32 v20, v20, v40
	v_fma_f32 v40, 0x3dbcf732, v8, -v7
	v_fmac_f32_e32 v7, 0x3dbcf732, v8
	v_add_f32_e32 v15, v15, v45
	v_add_f32_e32 v13, v13, v26
	v_fma_f32 v26, 0xbe8c1d8e, v8, -v39
	v_dual_add_f32 v6, v40, v6 :: v_dual_fmac_f32 v39, 0xbe8c1d8e, v8
	v_add_f32_e32 v8, v11, v21
	v_add_f32_e32 v5, v7, v5
	s_delay_alu instid0(VALU_DEP_4) | instskip(NEXT) | instid1(VALU_DEP_4)
	v_add_f32_e32 v9, v26, v9
                                        ; implicit-def: $vgpr45
	v_add_f32_e32 v11, v39, v12
	ds_store_2addr_b32 v65, v24, v16 offset1:1
	ds_store_2addr_b32 v65, v14, v10 offset0:2 offset1:3
	ds_store_2addr_b32 v65, v18, v15 offset0:4 offset1:5
	;; [unrolled: 1-line block ×7, first 2 shown]
	ds_store_b32 v65, v22 offset:64
	global_wb scope:SCOPE_SE
	s_wait_dscnt 0x0
	s_barrier_signal -1
	s_barrier_wait -1
	global_inv scope:SCOPE_SE
	ds_load_2addr_b32 v[15:16], v66 offset0:33 offset1:152
	ds_load_2addr_b32 v[13:14], v67 offset0:66 offset1:185
	;; [unrolled: 1-line block ×6, first 2 shown]
	ds_load_b32 v18, v23
	ds_load_b32 v17, v56
	s_and_saveexec_b32 s1, s0
	s_cbranch_execz .LBB0_17
; %bb.16:
	ds_load_b32 v25, v23 offset:2108
	ds_load_b32 v22, v23 offset:3264
	;; [unrolled: 1-line block ×5, first 2 shown]
	ds_load_b32 v19, v55
	ds_load_b32 v43, v23 offset:7888
.LBB0_17:
	s_wait_alu 0xfffe
	s_or_b32 exec_lo, exec_lo, s1
	v_and_b32_e32 v20, 0xff, v52
	s_delay_alu instid0(VALU_DEP_1) | instskip(NEXT) | instid1(VALU_DEP_1)
	v_mul_lo_u16 v20, 0xf1, v20
	v_lshrrev_b16 v20, 12, v20
	s_delay_alu instid0(VALU_DEP_1) | instskip(NEXT) | instid1(VALU_DEP_1)
	v_mul_lo_u16 v24, v20, 17
	v_sub_nc_u16 v24, v52, v24
	s_delay_alu instid0(VALU_DEP_1) | instskip(NEXT) | instid1(VALU_DEP_1)
	v_and_b32_e32 v24, 0xff, v24
	v_mul_u32_u24_e32 v40, 6, v24
	s_delay_alu instid0(VALU_DEP_1)
	v_lshlrev_b32_e32 v40, 3, v40
	s_clause 0x1
	global_load_b128 v[73:76], v40, s[8:9]
	global_load_b128 v[77:80], v40, s[8:9] offset:16
	v_and_b32_e32 v21, 0xff, v53
	v_and_b32_e32 v26, 0xffff, v54
	global_load_b128 v[81:84], v40, s[8:9] offset:32
	s_wait_loadcnt_dscnt 0x207
	v_mul_f32_e32 v68, v15, v74
	v_mul_lo_u16 v21, 0xf1, v21
	s_wait_dscnt 0x6
	v_mul_f32_e32 v67, v13, v76
	v_mul_u32_u24_e32 v26, 0xf0f1, v26
	s_wait_loadcnt_dscnt 0x105
	v_mul_f32_e32 v69, v11, v78
	v_fmac_f32_e32 v68, v35, v73
	v_lshrrev_b16 v21, 12, v21
	v_mul_f32_e32 v78, v29, v78
	v_lshrrev_b32_e32 v26, 20, v26
	v_mul_f32_e32 v74, v35, v74
	s_wait_dscnt 0x4
	v_mul_f32_e32 v70, v9, v80
	v_mul_lo_u16 v39, v21, 17
	v_and_b32_e32 v21, 0xffff, v21
	v_mul_lo_u16 v41, v26, 17
	v_fma_f32 v11, v11, v77, -v78
	v_fma_f32 v15, v15, v73, -v74
	v_sub_nc_u16 v39, v53, v39
	v_fmac_f32_e32 v70, v33, v79
	v_sub_nc_u16 v41, v54, v41
	v_fmac_f32_e32 v67, v37, v75
	v_fmac_f32_e32 v69, v29, v77
	v_dual_mul_f32 v76, v37, v76 :: v_dual_and_b32 v39, 0xff, v39
	s_delay_alu instid0(VALU_DEP_1) | instskip(SKIP_1) | instid1(VALU_DEP_3)
	v_mul_u32_u24_e32 v46, 6, v39
	v_lshlrev_b32_e32 v39, 2, v39
	v_fma_f32 v35, v13, v75, -v76
	s_delay_alu instid0(VALU_DEP_3)
	v_lshlrev_b32_e32 v46, 3, v46
	s_clause 0x1
	global_load_b128 v[89:92], v46, s[8:9] offset:16
	global_load_b128 v[85:88], v46, s[8:9]
	s_wait_loadcnt_dscnt 0x203
	v_dual_mul_f32 v71, v7, v82 :: v_dual_and_b32 v40, 0xffff, v41
	v_mul_f32_e32 v82, v31, v82
	s_wait_dscnt 0x2
	v_mul_f32_e32 v72, v5, v84
	v_mul_f32_e32 v84, v27, v84
	v_fmac_f32_e32 v71, v31, v81
	s_delay_alu instid0(VALU_DEP_3) | instskip(NEXT) | instid1(VALU_DEP_3)
	v_fmac_f32_e32 v72, v27, v83
	v_fma_f32 v31, v5, v83, -v84
	s_wait_loadcnt 0x1
	v_mul_f32_e32 v53, v12, v90
	v_mul_u32_u24_e32 v41, 6, v40
	s_wait_loadcnt 0x0
	v_mul_f32_e32 v49, v16, v86
	v_mul_f32_e32 v86, v36, v86
	v_dual_mul_f32 v80, v33, v80 :: v_dual_fmac_f32 v53, v30, v89
	v_lshlrev_b32_e32 v41, 3, v41
	s_clause 0x3
	global_load_b128 v[93:96], v46, s[8:9] offset:32
	global_load_b128 v[97:100], v41, s[8:9]
	global_load_b128 v[101:104], v41, s[8:9] offset:16
	global_load_b128 v[105:108], v41, s[8:9] offset:32
	v_and_b32_e32 v20, 0xffff, v20
	v_mul_u32_u24_e32 v46, 0x1dc, v21
	v_lshlrev_b32_e32 v24, 2, v24
	v_mul_lo_u16 v21, 0x77, v26
	v_fma_f32 v13, v16, v85, -v86
	v_fma_f32 v16, v7, v81, -v82
	v_fmac_f32_e32 v49, v36, v85
	v_fma_f32 v9, v9, v79, -v80
	global_wb scope:SCOPE_SE
	s_wait_loadcnt_dscnt 0x0
	s_barrier_signal -1
	s_barrier_wait -1
	global_inv scope:SCOPE_SE
	v_dual_sub_f32 v36, v9, v11 :: v_dual_sub_f32 v33, v35, v16
	v_mul_f32_e32 v65, v8, v94
	v_mul_u32_u24_e32 v41, 0x1dc, v20
	v_mul_f32_e32 v50, v14, v88
	v_mul_f32_e32 v94, v32, v94
	;; [unrolled: 1-line block ×4, first 2 shown]
	v_add3_u32 v26, 0, v41, v24
	v_add3_u32 v24, 0, v46, v39
	v_mul_f32_e32 v39, v22, v100
	v_mul_f32_e32 v88, v38, v88
	v_fma_f32 v8, v8, v93, -v94
	v_dual_mul_f32 v47, v44, v106 :: v_dual_lshlrev_b32 v20, 2, v40
	s_delay_alu instid0(VALU_DEP_4) | instskip(NEXT) | instid1(VALU_DEP_4)
	v_fmac_f32_e32 v39, v57, v99
	v_fma_f32 v14, v14, v87, -v88
	v_mul_f32_e32 v40, v25, v98
	v_mul_f32_e32 v41, v45, v102
	;; [unrolled: 1-line block ×3, first 2 shown]
	v_fma_f32 v30, v43, v107, -v108
	v_sub_f32_e32 v43, v14, v8
	v_mul_f32_e32 v46, v42, v104
	v_mul_f32_e32 v98, v58, v98
	v_dual_mul_f32 v104, v61, v104 :: v_dual_fmac_f32 v41, v64, v101
	v_fma_f32 v5, v12, v89, -v90
	s_delay_alu instid0(VALU_DEP_4)
	v_fmac_f32_e32 v46, v61, v103
	v_fmac_f32_e32 v48, v62, v107
	v_dual_sub_f32 v12, v15, v31 :: v_dual_add_f32 v61, v36, v33
	v_sub_f32_e32 v62, v36, v33
	v_mul_f32_e32 v102, v64, v102
	v_mul_f32_e32 v66, v6, v96
	s_delay_alu instid0(VALU_DEP_4) | instskip(SKIP_3) | instid1(VALU_DEP_3)
	v_sub_f32_e32 v36, v12, v36
	v_sub_f32_e32 v33, v33, v12
	v_dual_add_f32 v12, v61, v12 :: v_dual_mul_f32 v61, 0x3f08b237, v62
	v_dual_mul_f32 v54, v10, v92 :: v_dual_fmac_f32 v47, v63, v105
	v_mul_f32_e32 v62, 0xbf5ff5aa, v33
	v_fmac_f32_e32 v65, v32, v93
	s_delay_alu instid0(VALU_DEP_4) | instskip(SKIP_3) | instid1(VALU_DEP_4)
	v_fma_f32 v33, 0xbf5ff5aa, v33, -v61
	v_fmac_f32_e32 v50, v38, v87
	v_fmac_f32_e32 v66, v28, v95
	;; [unrolled: 1-line block ×3, first 2 shown]
	v_dual_add_f32 v32, v67, v71 :: v_dual_fmac_f32 v33, 0xbee1c552, v12
	s_delay_alu instid0(VALU_DEP_3) | instskip(SKIP_3) | instid1(VALU_DEP_4)
	v_dual_mul_f32 v92, v34, v92 :: v_dual_add_f32 v37, v49, v66
	v_mul_f32_e32 v96, v28, v96
	v_mul_f32_e32 v106, v63, v106
	v_fma_f32 v28, v42, v103, -v104
	v_fma_f32 v7, v10, v91, -v92
	v_add_f32_e32 v10, v68, v72
	v_mul_f32_e32 v100, v57, v100
	v_add_f32_e32 v42, v50, v65
	v_fma_f32 v29, v44, v105, -v106
	v_add_f32_e32 v44, v53, v54
	v_add_f32_e32 v57, v32, v10
	v_fma_f32 v27, v22, v99, -v100
	v_fma_f32 v22, v45, v101, -v102
	v_sub_f32_e32 v45, v7, v5
	v_add_f32_e32 v63, v42, v37
	v_fma_f32 v6, v6, v95, -v96
	v_sub_f32_e32 v64, v42, v37
	s_delay_alu instid0(VALU_DEP_4) | instskip(SKIP_1) | instid1(VALU_DEP_4)
	v_dual_sub_f32 v42, v44, v42 :: v_dual_add_f32 v73, v45, v43
	v_sub_f32_e32 v74, v45, v43
	v_sub_f32_e32 v38, v13, v6
	v_dual_sub_f32 v37, v37, v44 :: v_dual_add_f32 v44, v44, v63
	s_delay_alu instid0(VALU_DEP_4) | instskip(NEXT) | instid1(VALU_DEP_3)
	v_mul_f32_e32 v63, 0x3d64c772, v42
	v_dual_add_f32 v34, v69, v70 :: v_dual_sub_f32 v45, v38, v45
	v_sub_f32_e32 v43, v43, v38
	v_add_f32_e32 v38, v73, v38
	v_mul_f32_e32 v73, 0x3f08b237, v74
	v_mul_f32_e32 v37, 0x3f4a47b2, v37
	s_delay_alu instid0(VALU_DEP_4) | instskip(SKIP_1) | instid1(VALU_DEP_4)
	v_dual_add_f32 v59, v59, v44 :: v_dual_mul_f32 v74, 0xbf5ff5aa, v43
	v_fma_f32 v25, v25, v97, -v98
	v_fma_f32 v43, 0xbf5ff5aa, v43, -v73
	v_fmac_f32_e32 v40, v58, v97
	v_sub_f32_e32 v58, v32, v10
	v_sub_f32_e32 v10, v10, v34
	s_delay_alu instid0(VALU_DEP_4) | instskip(SKIP_2) | instid1(VALU_DEP_4)
	v_dual_sub_f32 v32, v34, v32 :: v_dual_fmac_f32 v43, 0xbee1c552, v38
	v_add_f32_e32 v34, v34, v57
	v_fmamk_f32 v42, v42, 0x3d64c772, v37
	v_mul_f32_e32 v10, 0x3f4a47b2, v10
	s_delay_alu instid0(VALU_DEP_4) | instskip(SKIP_2) | instid1(VALU_DEP_4)
	v_mul_f32_e32 v57, 0x3d64c772, v32
	v_fma_f32 v37, 0xbf3bfb3b, v64, -v37
	v_add_f32_e32 v60, v60, v34
	v_fmamk_f32 v32, v32, 0x3d64c772, v10
	s_delay_alu instid0(VALU_DEP_4)
	v_fma_f32 v57, 0x3f3bfb3b, v58, -v57
	v_fma_f32 v10, 0xbf3bfb3b, v58, -v10
	v_fmamk_f32 v58, v36, 0xbeae86e6, v61
	v_fma_f32 v36, 0x3eae86e6, v36, -v62
	v_fmamk_f32 v34, v34, 0xbf955555, v60
	v_fmamk_f32 v62, v45, 0xbeae86e6, v73
	v_fma_f32 v45, 0x3eae86e6, v45, -v74
	v_fmac_f32_e32 v58, 0xbee1c552, v12
	v_fmac_f32_e32 v36, 0xbee1c552, v12
	v_fmamk_f32 v12, v44, 0xbf955555, v59
	v_fma_f32 v61, 0x3f3bfb3b, v64, -v63
	v_add_f32_e32 v32, v32, v34
	v_fmac_f32_e32 v62, 0xbee1c552, v38
	v_fmac_f32_e32 v45, 0xbee1c552, v38
	v_add_f32_e32 v38, v57, v34
	v_add_f32_e32 v10, v10, v34
	;; [unrolled: 1-line block ×5, first 2 shown]
	s_delay_alu instid0(VALU_DEP_4)
	v_dual_add_f32 v37, v58, v32 :: v_dual_add_f32 v44, v36, v10
	v_sub_f32_e32 v57, v38, v33
	v_dual_add_f32 v33, v33, v38 :: v_dual_sub_f32 v10, v10, v36
	v_sub_f32_e32 v32, v32, v58
	v_add_f32_e32 v36, v62, v34
	v_add_f32_e32 v38, v45, v12
	v_sub_f32_e32 v58, v42, v43
	v_add_f32_e32 v42, v43, v42
	v_sub_f32_e32 v12, v12, v45
	v_sub_f32_e32 v34, v34, v62
	ds_store_2addr_b32 v26, v60, v37 offset1:17
	ds_store_2addr_b32 v26, v44, v57 offset0:34 offset1:51
	ds_store_2addr_b32 v26, v33, v10 offset0:68 offset1:85
	ds_store_b32 v26, v32 offset:408
	ds_store_2addr_b32 v24, v59, v36 offset1:17
	ds_store_2addr_b32 v24, v38, v58 offset0:34 offset1:51
	ds_store_2addr_b32 v24, v42, v12 offset0:68 offset1:85
	ds_store_b32 v24, v34 offset:408
	s_and_saveexec_b32 s1, s0
	s_cbranch_execz .LBB0_19
; %bb.18:
	v_dual_add_f32 v10, v40, v48 :: v_dual_sub_f32 v33, v25, v30
	v_dual_add_f32 v32, v41, v46 :: v_dual_sub_f32 v37, v27, v29
	v_sub_f32_e32 v34, v28, v22
	v_add_f32_e32 v12, v39, v47
	s_delay_alu instid0(VALU_DEP_2) | instskip(NEXT) | instid1(VALU_DEP_2)
	v_dual_sub_f32 v38, v10, v32 :: v_dual_sub_f32 v43, v33, v34
	v_add_f32_e32 v36, v12, v10
	v_sub_f32_e32 v42, v32, v12
	v_sub_f32_e32 v10, v12, v10
	s_delay_alu instid0(VALU_DEP_3) | instskip(SKIP_2) | instid1(VALU_DEP_3)
	v_add_f32_e32 v32, v32, v36
	v_sub_f32_e32 v36, v34, v37
	v_add_f32_e32 v34, v34, v37
	v_dual_sub_f32 v37, v37, v33 :: v_dual_add_f32 v0, v0, v32
	s_delay_alu instid0(VALU_DEP_2) | instskip(NEXT) | instid1(VALU_DEP_2)
	v_dual_mul_f32 v36, 0x3f08b237, v36 :: v_dual_add_f32 v33, v34, v33
	v_mul_f32_e32 v44, 0xbf5ff5aa, v37
	s_delay_alu instid0(VALU_DEP_3) | instskip(NEXT) | instid1(VALU_DEP_3)
	v_fmamk_f32 v32, v32, 0xbf955555, v0
	v_fmamk_f32 v34, v43, 0xbeae86e6, v36
	v_fma_f32 v36, 0xbf5ff5aa, v37, -v36
	s_delay_alu instid0(VALU_DEP_4) | instskip(SKIP_1) | instid1(VALU_DEP_4)
	v_fma_f32 v43, 0x3eae86e6, v43, -v44
	v_and_b32_e32 v37, 0xffff, v21
	v_fmac_f32_e32 v34, 0xbee1c552, v33
	s_delay_alu instid0(VALU_DEP_4) | instskip(SKIP_3) | instid1(VALU_DEP_3)
	v_fmac_f32_e32 v36, 0xbee1c552, v33
	v_mul_f32_e32 v12, 0x3f4a47b2, v38
	v_fmac_f32_e32 v43, 0xbee1c552, v33
	v_mul_f32_e32 v38, 0x3d64c772, v42
	v_fmamk_f32 v42, v42, 0x3d64c772, v12
	v_fma_f32 v12, 0xbf3bfb3b, v10, -v12
	s_delay_alu instid0(VALU_DEP_3) | instskip(NEXT) | instid1(VALU_DEP_3)
	v_fma_f32 v10, 0x3f3bfb3b, v10, -v38
	v_add_f32_e32 v42, v42, v32
	s_delay_alu instid0(VALU_DEP_3) | instskip(NEXT) | instid1(VALU_DEP_3)
	v_add_f32_e32 v12, v12, v32
	v_add_f32_e32 v10, v10, v32
	v_lshlrev_b32_e32 v32, 2, v37
	s_delay_alu instid0(VALU_DEP_3) | instskip(NEXT) | instid1(VALU_DEP_3)
	v_dual_add_f32 v38, v34, v42 :: v_dual_sub_f32 v33, v12, v43
	v_sub_f32_e32 v37, v10, v36
	s_delay_alu instid0(VALU_DEP_3)
	v_add3_u32 v32, 0, v20, v32
	v_add_f32_e32 v12, v43, v12
	v_add_f32_e32 v10, v36, v10
	v_sub_f32_e32 v34, v42, v34
	ds_store_2addr_b32 v32, v0, v38 offset1:17
	ds_store_2addr_b32 v32, v12, v37 offset0:34 offset1:51
	ds_store_2addr_b32 v32, v10, v33 offset0:68 offset1:85
	ds_store_b32 v32, v34 offset:408
.LBB0_19:
	s_wait_alu 0xfffe
	s_or_b32 exec_lo, exec_lo, s1
	v_dual_add_f32 v0, v15, v31 :: v_dual_sub_f32 v15, v70, v69
	v_dual_sub_f32 v12, v68, v72 :: v_dual_add_f32 v9, v11, v9
	v_add_f32_e32 v10, v35, v16
	v_sub_f32_e32 v11, v67, v71
	global_wb scope:SCOPE_SE
	s_wait_dscnt 0x0
	s_barrier_signal -1
	s_barrier_wait -1
	v_add_f32_e32 v16, v10, v0
	v_dual_sub_f32 v31, v10, v0 :: v_dual_sub_f32 v0, v0, v9
	v_sub_f32_e32 v10, v9, v10
	s_delay_alu instid0(VALU_DEP_3)
	v_dual_add_f32 v32, v15, v11 :: v_dual_add_f32 v9, v9, v16
	v_sub_f32_e32 v16, v15, v11
	v_sub_f32_e32 v11, v11, v12
	;; [unrolled: 1-line block ×3, first 2 shown]
	v_add_f32_e32 v5, v5, v7
	v_dual_add_f32 v33, v18, v9 :: v_dual_add_f32 v12, v32, v12
	v_mul_f32_e32 v16, 0x3f08b237, v16
	v_dual_mul_f32 v32, 0xbf5ff5aa, v11 :: v_dual_sub_f32 v7, v50, v65
	s_delay_alu instid0(VALU_DEP_3) | instskip(SKIP_1) | instid1(VALU_DEP_4)
	v_fmamk_f32 v9, v9, 0xbf955555, v33
	v_mul_f32_e32 v0, 0x3f4a47b2, v0
	v_fmamk_f32 v34, v15, 0xbeae86e6, v16
	s_delay_alu instid0(VALU_DEP_4)
	v_fma_f32 v15, 0x3eae86e6, v15, -v32
	v_fma_f32 v11, 0xbf5ff5aa, v11, -v16
	global_inv scope:SCOPE_SE
	v_fmac_f32_e32 v34, 0xbee1c552, v12
	v_fmac_f32_e32 v15, 0xbee1c552, v12
	v_mul_f32_e32 v18, 0x3d64c772, v10
	v_fmamk_f32 v10, v10, 0x3d64c772, v0
	v_fmac_f32_e32 v11, 0xbee1c552, v12
	s_delay_alu instid0(VALU_DEP_2) | instskip(SKIP_1) | instid1(VALU_DEP_1)
	v_add_f32_e32 v35, v10, v9
	v_fma_f32 v0, 0xbf3bfb3b, v31, -v0
	v_add_f32_e32 v0, v0, v9
	s_delay_alu instid0(VALU_DEP_1) | instskip(SKIP_1) | instid1(VALU_DEP_1)
	v_sub_f32_e32 v37, v0, v15
	v_fma_f32 v18, 0x3f3bfb3b, v31, -v18
	v_add_f32_e32 v10, v18, v9
	v_dual_sub_f32 v9, v54, v53 :: v_dual_sub_f32 v36, v35, v34
	v_dual_add_f32 v43, v15, v0 :: v_dual_add_f32 v0, v13, v6
	v_add_f32_e32 v6, v14, v8
	s_delay_alu instid0(VALU_DEP_4)
	v_add_f32_e32 v38, v11, v10
	v_sub_f32_e32 v8, v49, v66
	v_sub_f32_e32 v42, v10, v11
	v_add_f32_e32 v12, v9, v7
	v_add_f32_e32 v10, v6, v0
	v_dual_sub_f32 v11, v6, v0 :: v_dual_sub_f32 v0, v0, v5
	v_sub_f32_e32 v6, v5, v6
	s_delay_alu instid0(VALU_DEP_3) | instskip(SKIP_3) | instid1(VALU_DEP_4)
	v_dual_add_f32 v34, v34, v35 :: v_dual_add_f32 v5, v5, v10
	v_dual_sub_f32 v10, v9, v7 :: v_dual_sub_f32 v9, v8, v9
	v_sub_f32_e32 v7, v7, v8
	v_add_f32_e32 v8, v12, v8
	v_add_f32_e32 v44, v17, v5
	s_delay_alu instid0(VALU_DEP_4) | instskip(SKIP_2) | instid1(VALU_DEP_4)
	v_mul_f32_e32 v10, 0x3f08b237, v10
	v_add_nc_u32_e32 v17, 0x1a00, v23
	v_mul_f32_e32 v13, 0xbf5ff5aa, v7
	v_fmamk_f32 v5, v5, 0xbf955555, v44
	s_delay_alu instid0(VALU_DEP_4) | instskip(SKIP_1) | instid1(VALU_DEP_4)
	v_fmamk_f32 v45, v9, 0xbeae86e6, v10
	v_fma_f32 v49, 0xbf5ff5aa, v7, -v10
	v_fma_f32 v50, 0x3eae86e6, v9, -v13
	v_add_nc_u32_e32 v7, 0x1000, v23
	s_delay_alu instid0(VALU_DEP_4) | instskip(SKIP_2) | instid1(VALU_DEP_2)
	v_fmac_f32_e32 v45, 0xbee1c552, v8
	v_mul_f32_e32 v0, 0x3f4a47b2, v0
	v_mul_f32_e32 v12, 0x3d64c772, v6
	v_fmamk_f32 v6, v6, 0x3d64c772, v0
	s_delay_alu instid0(VALU_DEP_1) | instskip(NEXT) | instid1(VALU_DEP_1)
	v_dual_add_f32 v53, v6, v5 :: v_dual_add_nc_u32 v6, 0x800, v23
	v_sub_f32_e32 v35, v53, v45
	v_fma_f32 v0, 0xbf3bfb3b, v11, -v0
	v_add_f32_e32 v45, v45, v53
	v_fma_f32 v12, 0x3f3bfb3b, v11, -v12
	s_delay_alu instid0(VALU_DEP_3) | instskip(NEXT) | instid1(VALU_DEP_2)
	v_add_f32_e32 v57, v0, v5
	v_dual_add_f32 v54, v12, v5 :: v_dual_add_nc_u32 v5, 0x400, v23
	v_fmac_f32_e32 v50, 0xbee1c552, v8
	ds_load_b32 v0, v23
	ds_load_b32 v32, v56
	;; [unrolled: 1-line block ×3, first 2 shown]
	ds_load_2addr_b32 v[11:12], v5 offset0:101 offset1:220
	ds_load_2addr_b32 v[9:10], v6 offset0:83 offset1:202
	v_add_nc_u32_e32 v5, 0xc00, v23
	v_add_nc_u32_e32 v13, 0x1400, v23
	;; [unrolled: 1-line block ×3, first 2 shown]
	v_dual_fmac_f32 v49, 0xbee1c552, v8 :: v_dual_sub_f32 v58, v57, v50
	v_add_f32_e32 v50, v50, v57
	ds_load_2addr_b32 v[5:6], v5 offset0:65 offset1:184
	ds_load_2addr_b32 v[7:8], v7 offset0:47 offset1:166
	;; [unrolled: 1-line block ×5, first 2 shown]
	global_wb scope:SCOPE_SE
	s_wait_dscnt 0x0
	v_add_f32_e32 v59, v49, v54
	v_sub_f32_e32 v49, v54, v49
	s_barrier_signal -1
	s_barrier_wait -1
	global_inv scope:SCOPE_SE
	ds_store_2addr_b32 v26, v33, v36 offset1:17
	ds_store_2addr_b32 v26, v37, v38 offset0:34 offset1:51
	ds_store_2addr_b32 v26, v42, v43 offset0:68 offset1:85
	ds_store_b32 v26, v34 offset:408
	ds_store_2addr_b32 v24, v44, v35 offset1:17
	ds_store_2addr_b32 v24, v58, v59 offset0:34 offset1:51
	ds_store_2addr_b32 v24, v49, v50 offset0:68 offset1:85
	ds_store_b32 v24, v45 offset:408
	s_and_saveexec_b32 s1, s0
	s_cbranch_execz .LBB0_21
; %bb.20:
	v_dual_add_f32 v24, v25, v30 :: v_dual_add_f32 v25, v27, v29
	v_dual_sub_f32 v26, v40, v48 :: v_dual_sub_f32 v27, v39, v47
	v_add_f32_e32 v22, v22, v28
	s_delay_alu instid0(VALU_DEP_3) | instskip(SKIP_1) | instid1(VALU_DEP_2)
	v_dual_sub_f32 v28, v46, v41 :: v_dual_add_f32 v29, v25, v24
	v_and_b32_e32 v21, 0xffff, v21
	v_dual_add_f32 v33, v28, v27 :: v_dual_sub_f32 v30, v25, v24
	s_delay_alu instid0(VALU_DEP_4) | instskip(NEXT) | instid1(VALU_DEP_4)
	v_dual_sub_f32 v25, v22, v25 :: v_dual_sub_f32 v24, v24, v22
	v_dual_add_f32 v22, v22, v29 :: v_dual_sub_f32 v29, v28, v27
	v_dual_sub_f32 v28, v26, v28 :: v_dual_sub_f32 v27, v27, v26
	s_delay_alu instid0(VALU_DEP_3) | instskip(NEXT) | instid1(VALU_DEP_3)
	v_dual_add_f32 v26, v33, v26 :: v_dual_mul_f32 v33, 0x3d64c772, v25
	v_mul_f32_e32 v29, 0x3f08b237, v29
	s_delay_alu instid0(VALU_DEP_4) | instskip(SKIP_1) | instid1(VALU_DEP_4)
	v_dual_add_f32 v19, v19, v22 :: v_dual_mul_f32 v24, 0x3f4a47b2, v24
	v_lshlrev_b32_e32 v21, 2, v21
	v_fma_f32 v33, 0x3f3bfb3b, v30, -v33
	s_delay_alu instid0(VALU_DEP_3) | instskip(NEXT) | instid1(VALU_DEP_4)
	v_fmamk_f32 v22, v22, 0xbf955555, v19
	v_fmamk_f32 v25, v25, 0x3d64c772, v24
	v_mul_f32_e32 v34, 0xbf5ff5aa, v27
	v_fma_f32 v24, 0xbf3bfb3b, v30, -v24
	v_fmamk_f32 v30, v28, 0xbeae86e6, v29
	v_fma_f32 v27, 0xbf5ff5aa, v27, -v29
	v_add_f32_e32 v29, v33, v22
	v_add_f32_e32 v25, v25, v22
	v_fma_f32 v28, 0x3eae86e6, v28, -v34
	v_add_f32_e32 v22, v24, v22
	v_fmac_f32_e32 v27, 0xbee1c552, v26
	v_fmac_f32_e32 v30, 0xbee1c552, v26
	v_add3_u32 v20, 0, v20, v21
	s_delay_alu instid0(VALU_DEP_3) | instskip(NEXT) | instid1(VALU_DEP_1)
	v_dual_fmac_f32 v28, 0xbee1c552, v26 :: v_dual_sub_f32 v21, v29, v27
	v_dual_sub_f32 v26, v22, v28 :: v_dual_add_f32 v33, v27, v29
	s_delay_alu instid0(VALU_DEP_4)
	v_sub_f32_e32 v24, v25, v30
	v_dual_add_f32 v22, v28, v22 :: v_dual_add_f32 v25, v30, v25
	ds_store_2addr_b32 v20, v19, v24 offset1:17
	ds_store_2addr_b32 v20, v26, v33 offset0:34 offset1:51
	ds_store_2addr_b32 v20, v21, v22 offset0:68 offset1:85
	ds_store_b32 v20, v25 offset:408
.LBB0_21:
	s_wait_alu 0xfffe
	s_or_b32 exec_lo, exec_lo, s1
	global_wb scope:SCOPE_SE
	s_wait_dscnt 0x0
	s_barrier_signal -1
	s_barrier_wait -1
	global_inv scope:SCOPE_SE
	s_and_saveexec_b32 s0, vcc_lo
	s_cbranch_execz .LBB0_23
; %bb.22:
	v_dual_mov_b32 v20, 0 :: v_dual_lshlrev_b32 v19, 4, v52
	v_mul_lo_u32 v30, s3, v3
	v_mul_lo_u32 v41, s2, v4
	v_mad_co_u64_u32 v[3:4], null, s2, v3, 0
	s_delay_alu instid0(VALU_DEP_4) | instskip(NEXT) | instid1(VALU_DEP_2)
	v_lshlrev_b64_e32 v[19:20], 3, v[19:20]
	v_add3_u32 v4, v4, v41, v30
	s_delay_alu instid0(VALU_DEP_2) | instskip(SKIP_1) | instid1(VALU_DEP_3)
	v_add_co_u32 v24, vcc_lo, s8, v19
	s_wait_alu 0xfffd
	v_add_co_ci_u32_e32 v25, vcc_lo, s9, v20, vcc_lo
	s_delay_alu instid0(VALU_DEP_3)
	v_lshlrev_b64_e32 v[3:4], 3, v[3:4]
	s_clause 0x7
	global_load_b128 v[19:22], v[24:25], off offset:816
	global_load_b128 v[26:29], v[24:25], off offset:928
	;; [unrolled: 1-line block ×8, first 2 shown]
	v_add_nc_u32_e32 v24, 0x1a00, v23
	v_add_nc_u32_e32 v43, 0x400, v23
	;; [unrolled: 1-line block ×5, first 2 shown]
	ds_load_b32 v42, v56
	ds_load_b32 v25, v23
	;; [unrolled: 1-line block ×3, first 2 shown]
	v_add_nc_u32_e32 v47, 0xc00, v23
	v_add_nc_u32_e32 v48, 0x1000, v23
	s_wait_loadcnt 0x7
	v_mul_f32_e32 v30, v32, v20
	s_wait_loadcnt 0x6
	v_mul_f32_e32 v41, v18, v28
	v_mul_f32_e32 v18, v18, v29
	;; [unrolled: 1-line block ×4, first 2 shown]
	s_wait_loadcnt 0x5
	v_mul_f32_e32 v60, v11, v33
	ds_load_2addr_b32 v[23:24], v24 offset0:121 offset1:240
	ds_load_2addr_b32 v[72:73], v43 offset0:101 offset1:220
	;; [unrolled: 1-line block ×7, first 2 shown]
	v_dual_mul_f32 v62, v32, v19 :: v_dual_mul_f32 v11, v11, v34
	v_mul_f32_e32 v43, v17, v26
	s_wait_loadcnt 0x2
	v_dual_mul_f32 v54, v10, v66 :: v_dual_mul_f32 v49, v13, v68
	s_wait_loadcnt 0x0
	v_dual_mul_f32 v53, v5, v76 :: v_dual_mul_f32 v50, v8, v86
	v_dual_mul_f32 v5, v5, v77 :: v_dual_mul_f32 v58, v6, v78
	;; [unrolled: 1-line block ×3, first 2 shown]
	v_mul_f32_e32 v17, v17, v27
	v_dual_mul_f32 v44, v16, v39 :: v_dual_mul_f32 v45, v15, v37
	v_mul_f32_e32 v16, v16, v40
	v_dual_mul_f32 v59, v12, v35 :: v_dual_mul_f32 v56, v9, v64
	v_dual_mul_f32 v15, v15, v38 :: v_dual_mul_f32 v12, v12, v36
	;; [unrolled: 1-line block ×5, first 2 shown]
	s_wait_dscnt 0x9
	v_dual_mul_f32 v7, v7, v85 :: v_dual_fmac_f32 v62, v42, v20
	s_wait_dscnt 0x4
	v_dual_fmac_f32 v41, v24, v29 :: v_dual_fmac_f32 v44, v75, v40
	v_fma_f32 v46, v24, v28, -v18
	v_fma_f32 v83, v42, v19, -v30
	s_wait_dscnt 0x3
	v_dual_fmac_f32 v61, v52, v22 :: v_dual_fmac_f32 v54, v89, v67
	v_dual_fmac_f32 v43, v23, v27 :: v_dual_fmac_f32 v60, v72, v34
	s_wait_dscnt 0x1
	v_dual_fmac_f32 v49, v90, v69 :: v_dual_fmac_f32 v58, v93, v79
	s_wait_dscnt 0x0
	s_delay_alu instid0(VALU_DEP_2)
	v_dual_fmac_f32 v55, v94, v85 :: v_dual_sub_f32 v40, v61, v43
	v_fma_f32 v48, v23, v26, -v17
	v_fma_f32 v82, v52, v21, -v31
	;; [unrolled: 1-line block ×3, first 2 shown]
	v_dual_fmac_f32 v59, v73, v36 :: v_dual_fmac_f32 v56, v88, v65
	v_fma_f32 v75, v73, v35, -v12
	v_dual_fmac_f32 v47, v91, v71 :: v_dual_sub_f32 v42, v62, v41
	v_fma_f32 v63, v91, v70, -v14
	v_fma_f32 v73, v89, v66, -v10
	;; [unrolled: 1-line block ×6, first 2 shown]
	v_dual_sub_f32 v26, v58, v55 :: v_dual_sub_f32 v21, v83, v46
	v_fma_f32 v80, v72, v33, -v11
	v_dual_fmac_f32 v45, v74, v38 :: v_dual_fmac_f32 v50, v95, v87
	v_fma_f32 v57, v74, v37, -v15
	v_fma_f32 v74, v88, v64, -v9
	;; [unrolled: 1-line block ×3, first 2 shown]
	v_dual_fmac_f32 v53, v92, v77 :: v_dual_add_f32 v84, v83, v46
	v_dual_sub_f32 v32, v60, v44 :: v_dual_sub_f32 v31, v59, v45
	v_dual_add_f32 v68, v70, v65 :: v_dual_add_f32 v67, v69, v66
	v_dual_add_f32 v39, v62, v41 :: v_dual_add_f32 v38, v61, v43
	v_dual_sub_f32 v119, v82, v48 :: v_dual_add_f32 v36, v59, v45
	v_dual_add_f32 v29, v58, v55 :: v_dual_sub_f32 v24, v69, v66
	v_dual_mul_f32 v98, 0xbeb8f4ab, v42 :: v_dual_mul_f32 v95, 0xbeb8f4ab, v21
	v_mul_f32_e32 v99, 0x3eb8f4ab, v26
	v_dual_add_f32 v85, v82, v48 :: v_dual_add_f32 v76, v75, v57
	v_dual_add_f32 v79, v80, v52 :: v_dual_add_f32 v72, v74, v63
	v_dual_sub_f32 v118, v80, v52 :: v_dual_sub_f32 v117, v75, v57
	v_dual_add_f32 v33, v53, v50 :: v_dual_mul_f32 v96, 0xbf65296c, v32
	v_dual_mul_f32 v97, 0xbf2c7751, v40 :: v_dual_mul_f32 v112, 0xbf2c7751, v42
	v_mul_f32_e32 v100, 0x3eb8f4ab, v24
	v_dual_mul_f32 v126, 0xbf65296c, v42 :: v_dual_mul_f32 v123, 0xbf65296c, v21
	v_dual_fmamk_f32 v150, v84, 0x3f6eb680, v98 :: v_dual_fmamk_f32 v183, v67, 0x3f6eb680, v99
	v_mul_f32_e32 v93, 0xbf2c7751, v119
	v_fma_f32 v155, 0x3f6eb680, v39, -v95
	v_dual_add_f32 v37, v60, v44 :: v_dual_sub_f32 v116, v74, v63
	v_dual_mul_f32 v125, 0xbf4c4adb, v40 :: v_dual_mul_f32 v120, 0xbf4c4adb, v119
	s_delay_alu instid0(VALU_DEP_3)
	v_dual_mul_f32 v124, 0x3e3c28d5, v32 :: v_dual_add_f32 v155, v0, v155
	v_dual_mul_f32 v137, 0x3ee437d1, v85 :: v_dual_fmamk_f32 v154, v79, 0x3ee437d1, v96
	v_fmamk_f32 v151, v85, 0x3f3d2fb0, v97
	v_add_f32_e32 v150, v25, v150
	v_mul_f32_e32 v91, 0xbf65296c, v118
	v_fma_f32 v156, 0x3f3d2fb0, v38, -v93
	v_fma_f32 v185, 0x3ee437d1, v39, -v123
	v_mul_f32_e32 v146, 0xbf4c4adb, v42
	v_dual_mul_f32 v149, 0xbeb8f4ab, v32 :: v_dual_mul_f32 v142, 0xbeb8f4ab, v118
	s_delay_alu instid0(VALU_DEP_3)
	v_dual_mul_f32 v6, 0x3eb8f4ab, v40 :: v_dual_add_f32 v185, v0, v185
	v_fma_f32 v187, 0xbf1a4643, v38, -v120
	v_add_f32_e32 v150, v150, v151
	v_fma_f32 v163, 0x3ee437d1, v37, -v91
	v_dual_add_f32 v155, v155, v156 :: v_dual_fmamk_f32 v184, v84, 0x3ee437d1, v126
	v_dual_sub_f32 v115, v73, v64 :: v_dual_sub_f32 v114, v70, v65
	v_dual_mul_f32 v106, 0xbf7ee86f, v40 :: v_dual_mul_f32 v111, 0xbf7ee86f, v119
	s_delay_alu instid0(VALU_DEP_2)
	v_dual_mul_f32 v113, 0xbf2c7751, v21 :: v_dual_mul_f32 v18, 0xbf2c7751, v115
	v_dual_mul_f32 v136, 0xbf59a7d5, v84 :: v_dual_add_f32 v185, v185, v187
	v_dual_fmamk_f32 v157, v84, 0x3f3d2fb0, v112 :: v_dual_add_f32 v150, v150, v154
	v_add_f32_e32 v155, v155, v163
	v_dual_mul_f32 v11, 0x3f2c7751, v31 :: v_dual_add_f32 v184, v25, v184
	v_fmamk_f32 v163, v79, 0x3f6eb680, v149
	v_fmamk_f32 v186, v85, 0xbf1a4643, v125
	v_dual_sub_f32 v30, v56, v47 :: v_dual_add_f32 v71, v73, v64
	v_dual_sub_f32 v28, v54, v49 :: v_dual_sub_f32 v27, v53, v50
	v_dual_mul_f32 v130, 0x3e3c28d5, v118 :: v_dual_add_f32 v157, v25, v157
	s_delay_alu instid0(VALU_DEP_4) | instskip(NEXT) | instid1(VALU_DEP_4)
	v_dual_mul_f32 v17, 0x3f763a35, v40 :: v_dual_add_f32 v184, v184, v186
	v_dual_mul_f32 v148, 0xbf4c4adb, v21 :: v_dual_mul_f32 v13, 0xbf4c4adb, v30
	v_fmamk_f32 v159, v85, 0x3dbcf732, v106
	v_fma_f32 v160, 0x3f3d2fb0, v39, -v113
	v_dual_mul_f32 v105, 0xbf4c4adb, v32 :: v_dual_mul_f32 v110, 0xbf4c4adb, v118
	v_mul_f32_e32 v107, 0x3f763a35, v115
	v_dual_mul_f32 v131, 0x3f763a35, v117 :: v_dual_mul_f32 v144, 0x3f763a35, v119
	v_dual_mul_f32 v140, 0xbf06c442, v117 :: v_dual_add_f32 v157, v157, v159
	v_dual_mul_f32 v138, 0xbe3c28d5, v27 :: v_dual_mul_f32 v5, 0xbe3c28d5, v42
	v_fma_f32 v161, 0x3dbcf732, v38, -v111
	v_add_f32_e32 v160, v0, v160
	v_fma_f32 v159, 0xbf1a4643, v39, -v148
	v_dual_mul_f32 v94, 0xbf7ee86f, v31 :: v_dual_mul_f32 v89, 0xbf7ee86f, v117
	v_dual_mul_f32 v92, 0xbf763a35, v30 :: v_dual_mul_f32 v87, 0xbf763a35, v116
	;; [unrolled: 1-line block ×3, first 2 shown]
	v_dual_mul_f32 v129, 0x3f2c7751, v116 :: v_dual_add_f32 v160, v160, v161
	v_dual_mul_f32 v14, 0xbf4c4adb, v116 :: v_dual_add_f32 v159, v0, v159
	v_dual_fmamk_f32 v164, v79, 0xbf1a4643, v105 :: v_dual_fmamk_f32 v151, v84, 0xbf1a4643, v146
	v_fma_f32 v161, 0xbe8c1d8e, v38, -v144
	v_fmamk_f32 v186, v84, 0xbf7ba420, v5
	v_fma_f32 v5, 0xbf7ba420, v84, -v5
	v_dual_mul_f32 v88, 0xbf06c442, v27 :: v_dual_mul_f32 v121, 0xbf06c442, v24
	v_dual_mul_f32 v133, 0xbeb8f4ab, v28 :: v_dual_mul_f32 v128, 0xbeb8f4ab, v115
	;; [unrolled: 1-line block ×3, first 2 shown]
	v_dual_fmamk_f32 v162, v76, 0x3dbcf732, v94 :: v_dual_add_f32 v159, v159, v161
	v_dual_fmamk_f32 v166, v72, 0xbe8c1d8e, v92 :: v_dual_add_f32 v5, v25, v5
	;; [unrolled: 1-line block ×3, first 2 shown]
	v_fmamk_f32 v187, v85, 0x3f6eb680, v6
	v_fma_f32 v6, 0x3f6eb680, v85, -v6
	v_fma_f32 v164, 0x3f6eb680, v37, -v142
	v_dual_mul_f32 v90, 0xbf4c4adb, v28 :: v_dual_mul_f32 v81, 0xbf4c4adb, v115
	v_dual_mul_f32 v104, 0xbe3c28d5, v31 :: v_dual_mul_f32 v109, 0xbe3c28d5, v117
	;; [unrolled: 1-line block ×3, first 2 shown]
	v_dual_mul_f32 v139, 0x3f7ee86f, v116 :: v_dual_add_f32 v186, v25, v186
	v_dual_mul_f32 v10, 0xbf06c442, v118 :: v_dual_add_f32 v151, v25, v151
	v_dual_fmamk_f32 v174, v68, 0xbf59a7d5, v88 :: v_dual_add_f32 v5, v5, v6
	v_dual_fmamk_f32 v156, v85, 0xbe8c1d8e, v17 :: v_dual_add_f32 v159, v159, v164
	v_mul_f32_e32 v8, 0x3eb8f4ab, v119
	v_fma_f32 v161, 0xbf7ba420, v39, -v7
	v_fma_f32 v6, 0xbf7ba420, v37, -v130
	s_delay_alu instid0(VALU_DEP_4)
	v_add_f32_e32 v151, v151, v156
	v_dual_mul_f32 v103, 0x3f06c442, v30 :: v_dual_mul_f32 v108, 0x3f06c442, v116
	v_dual_mul_f32 v23, 0x3f763a35, v28 :: v_dual_mul_f32 v134, 0x3f763a35, v31
	v_dual_mul_f32 v143, 0xbf2c7751, v28 :: v_dual_add_f32 v186, v186, v187
	v_dual_fmamk_f32 v168, v76, 0xbf7ba420, v104 :: v_dual_fmac_f32 v7, 0xbf7ba420, v39
	v_dual_fmamk_f32 v170, v71, 0xbf1a4643, v90 :: v_dual_add_f32 v161, v0, v161
	v_fma_f32 v187, 0x3f6eb680, v38, -v8
	v_dual_add_f32 v6, v185, v6 :: v_dual_fmamk_f32 v185, v79, 0xbf59a7d5, v9
	v_dual_add_f32 v35, v56, v47 :: v_dual_add_f32 v34, v54, v49
	v_dual_mul_f32 v78, 0xbf06c442, v114 :: v_dual_mul_f32 v147, 0xbf06c442, v31
	v_dual_mul_f32 v101, 0x3f65296c, v27 :: v_dual_mul_f32 v102, 0x3f65296c, v114
	;; [unrolled: 1-line block ×3, first 2 shown]
	v_fma_f32 v165, 0xbf1a4643, v37, -v110
	v_fma_f32 v167, 0x3dbcf732, v36, -v89
	v_dual_fmamk_f32 v172, v72, 0xbf59a7d5, v103 :: v_dual_add_f32 v161, v161, v187
	v_dual_fmamk_f32 v176, v71, 0xbe8c1d8e, v23 :: v_dual_add_f32 v7, v0, v7
	v_fmamk_f32 v187, v79, 0xbf7ba420, v124
	v_fma_f32 v154, 0xbe8c1d8e, v36, -v131
	v_fma_f32 v164, 0xbf59a7d5, v37, -v10
	v_fmac_f32_e32 v10, 0xbf59a7d5, v37
	v_dual_fmac_f32 v8, 0x3f6eb680, v38 :: v_dual_add_f32 v185, v186, v185
	v_fma_f32 v186, 0xbf59a7d5, v36, -v140
	v_dual_mul_f32 v145, 0x3f7ee86f, v30 :: v_dual_mul_f32 v158, 0x3f7ee86f, v24
	v_dual_mul_f32 v153, 0x3f7ee86f, v26 :: v_dual_add_f32 v160, v160, v165
	v_fma_f32 v169, 0xbf7ba420, v36, -v109
	v_fma_f32 v171, 0xbe8c1d8e, v35, -v87
	v_dual_fmamk_f32 v180, v68, 0x3ee437d1, v101 :: v_dual_add_f32 v7, v7, v8
	v_dual_fmamk_f32 v8, v76, 0xbe8c1d8e, v134 :: v_dual_add_f32 v161, v161, v164
	;; [unrolled: 1-line block ×3, first 2 shown]
	v_add_f32_e32 v184, v184, v187
	v_fma_f32 v9, 0xbf59a7d5, v79, -v9
	v_dual_add_f32 v150, v150, v162 :: v_dual_add_f32 v151, v151, v163
	s_delay_alu instid0(VALU_DEP_3)
	v_dual_add_f32 v155, v155, v167 :: v_dual_add_f32 v8, v184, v8
	v_dual_add_f32 v157, v157, v168 :: v_dual_fmamk_f32 v154, v76, 0x3f3d2fb0, v11
	v_fmamk_f32 v163, v76, 0xbf59a7d5, v147
	v_add_f32_e32 v159, v159, v186
	v_fma_f32 v186, 0x3f3d2fb0, v36, -v12
	v_dual_mul_f32 v132, 0xbf7ee86f, v27 :: v_dual_mul_f32 v127, 0xbf7ee86f, v114
	v_dual_mul_f32 v22, 0x3f65296c, v26 :: v_dual_mul_f32 v19, 0x3f65296c, v24
	;; [unrolled: 1-line block ×3, first 2 shown]
	v_fma_f32 v173, 0xbf59a7d5, v35, -v108
	v_fma_f32 v187, 0x3f3d2fb0, v35, -v129
	v_add_f32_e32 v5, v5, v9
	v_dual_add_f32 v7, v7, v10 :: v_dual_add_f32 v160, v160, v169
	v_fmamk_f32 v10, v72, 0x3dbcf732, v145
	v_dual_fmamk_f32 v169, v71, 0x3f3d2fb0, v143 :: v_dual_fmac_f32 v12, 0x3f3d2fb0, v36
	v_fma_f32 v11, 0x3f3d2fb0, v76, -v11
	v_dual_add_f32 v154, v185, v154 :: v_dual_add_f32 v151, v151, v163
	v_dual_add_f32 v161, v161, v186 :: v_dual_fmamk_f32 v186, v68, 0xbf7ba420, v138
	v_add_f32_e32 v155, v155, v171
	s_delay_alu instid0(VALU_DEP_3)
	v_dual_fmamk_f32 v171, v72, 0xbf1a4643, v13 :: v_dual_add_f32 v10, v151, v10
	v_dual_mul_f32 v141, 0xbf763a35, v27 :: v_dual_mul_f32 v152, 0xbf763a35, v114
	v_fma_f32 v175, 0xbf1a4643, v34, -v81
	v_fma_f32 v177, 0xbe8c1d8e, v34, -v107
	v_fmamk_f32 v164, v71, 0x3f6eb680, v133
	v_fma_f32 v9, 0x3f6eb680, v34, -v128
	v_fma_f32 v162, 0x3dbcf732, v35, -v139
	v_dual_fmamk_f32 v167, v68, 0x3dbcf732, v132 :: v_dual_add_f32 v150, v150, v166
	v_dual_fmamk_f32 v163, v67, 0xbf59a7d5, v122 :: v_dual_add_f32 v160, v160, v173
	v_dual_add_f32 v5, v5, v11 :: v_dual_add_f32 v8, v8, v165
	v_dual_add_f32 v7, v7, v12 :: v_dual_add_f32 v6, v6, v187
	v_add_f32_e32 v157, v157, v172
	v_fma_f32 v172, 0xbf1a4643, v35, -v14
	v_fma_f32 v13, 0xbf1a4643, v72, -v13
	v_fmac_f32_e32 v14, 0xbf1a4643, v35
	v_dual_fmamk_f32 v173, v71, 0x3ee437d1, v15 :: v_dual_add_f32 v154, v154, v171
	v_fma_f32 v179, 0xbf59a7d5, v33, -v78
	v_fma_f32 v181, 0x3ee437d1, v33, -v102
	;; [unrolled: 1-line block ×3, first 2 shown]
	v_fmamk_f32 v12, v67, 0x3ee437d1, v22
	v_fma_f32 v165, 0x3ee437d1, v34, -v16
	v_dual_fmamk_f32 v187, v68, 0xbe8c1d8e, v141 :: v_dual_add_f32 v188, v7, v14
	v_add_f32_e32 v159, v159, v162
	v_fmamk_f32 v162, v67, 0x3dbcf732, v153
	v_add_f32_e32 v14, v157, v176
	v_fma_f32 v15, 0x3ee437d1, v71, -v15
	v_dual_add_f32 v161, v161, v172 :: v_dual_fmac_f32 v16, 0x3ee437d1, v34
	v_dual_fmamk_f32 v172, v42, 0x3f06c442, v136 :: v_dual_add_f32 v5, v5, v13
	v_dual_add_f32 v8, v8, v164 :: v_dual_add_f32 v7, v150, v170
	v_dual_add_f32 v150, v160, v177 :: v_dual_add_f32 v13, v155, v175
	v_add_f32_e32 v6, v6, v9
	v_dual_add_f32 v9, v10, v169 :: v_dual_add_f32 v10, v159, v184
	v_dual_add_f32 v154, v154, v173 :: v_dual_add_f32 v15, v5, v15
	v_fma_f32 v182, 0xbf7ba420, v29, -v77
	v_fma_f32 v156, 0x3f6eb680, v29, -v100
	v_fma_f32 v168, 0x3dbcf732, v33, -v127
	v_fma_f32 v11, 0xbf7ba420, v33, -v20
	v_fma_f32 v151, 0xbe8c1d8e, v33, -v152
	v_add_f32_e32 v155, v161, v165
	v_add_f32_e32 v5, v7, v174
	v_dual_add_f32 v159, v9, v186 :: v_dual_add_f32 v154, v154, v187
	v_add_f32_e32 v7, v13, v179
	v_add_f32_e32 v13, v14, v180
	;; [unrolled: 1-line block ×4, first 2 shown]
	v_fma_f32 v185, 0xbf59a7d5, v29, -v121
	v_fma_f32 v171, 0x3dbcf732, v29, -v158
	v_add_f32_e32 v157, v6, v168
	v_add_f32_e32 v11, v10, v11
	v_dual_add_f32 v151, v155, v151 :: v_dual_add_f32 v6, v5, v178
	v_add_f32_e32 v10, v150, v163
	v_add_f32_e32 v12, v159, v12
	;; [unrolled: 1-line block ×3, first 2 shown]
	v_dual_add_f32 v7, v14, v156 :: v_dual_mul_f32 v150, 0x3dbcf732, v79
	v_dual_add_f32 v155, v25, v172 :: v_dual_fmac_f32 v152, 0xbe8c1d8e, v33
	v_fmamk_f32 v156, v40, 0xbf65296c, v137
	v_fma_f32 v141, 0xbe8c1d8e, v68, -v141
	v_fma_f32 v166, 0x3ee437d1, v29, -v19
	v_add_f32_e32 v8, v13, v183
	v_dual_add_f32 v9, v157, v185 :: v_dual_add_f32 v14, v154, v162
	v_dual_add_f32 v154, v155, v156 :: v_dual_fmamk_f32 v155, v32, 0x3f7ee86f, v150
	v_add_f32_e32 v15, v15, v141
	v_mul_f32_e32 v141, 0x3f6eb680, v72
	v_add_f32_e32 v13, v151, v171
	s_delay_alu instid0(VALU_DEP_4) | instskip(SKIP_2) | instid1(VALU_DEP_3)
	v_dual_mul_f32 v151, 0xbf1a4643, v76 :: v_dual_add_f32 v154, v154, v155
	v_dual_add_f32 v11, v11, v166 :: v_dual_add_f32 v16, v188, v16
	v_fmac_f32_e32 v158, 0x3dbcf732, v29
	v_fmamk_f32 v156, v31, 0xbf4c4adb, v151
	v_fma_f32 v17, 0xbe8c1d8e, v85, -v17
	v_fma_f32 v149, 0x3f6eb680, v79, -v149
	v_add_f32_e32 v159, v16, v152
	v_fma_f32 v16, 0x3dbcf732, v67, -v153
	v_add_f32_e32 v153, v154, v156
	v_fmamk_f32 v154, v30, 0x3eb8f4ab, v141
	v_mul_f32_e32 v152, 0xbf7ba420, v71
	s_delay_alu instid0(VALU_DEP_4) | instskip(SKIP_1) | instid1(VALU_DEP_4)
	v_dual_mul_f32 v155, 0xbf06c442, v21 :: v_dual_add_f32 v16, v15, v16
	v_add_f32_e32 v15, v159, v158
	v_add_f32_e32 v154, v153, v154
	s_delay_alu instid0(VALU_DEP_4) | instskip(NEXT) | instid1(VALU_DEP_4)
	v_fmamk_f32 v160, v28, 0x3e3c28d5, v152
	v_fmamk_f32 v157, v39, 0xbf59a7d5, v155
	v_fma_f32 v159, 0xbf1a4643, v84, -v146
	v_fma_f32 v147, 0xbf59a7d5, v76, -v147
	;; [unrolled: 1-line block ×3, first 2 shown]
	v_add_f32_e32 v160, v154, v160
	v_dual_mul_f32 v156, 0x3f65296c, v119 :: v_dual_add_f32 v161, v0, v157
	v_mul_f32_e32 v157, 0xbf7ee86f, v118
	v_dual_mul_f32 v154, 0x3f4c4adb, v117 :: v_dual_add_f32 v159, v25, v159
	s_delay_alu instid0(VALU_DEP_3)
	v_fmamk_f32 v162, v38, 0x3ee437d1, v156
	v_fmac_f32_e32 v148, 0xbf1a4643, v39
	v_fma_f32 v143, 0x3f3d2fb0, v71, -v143
	v_fmac_f32_e32 v139, 0x3dbcf732, v35
	v_add_f32_e32 v17, v159, v17
	v_add_f32_e32 v161, v161, v162
	v_fmamk_f32 v162, v37, 0x3dbcf732, v157
	v_mul_f32_e32 v153, 0x3f3d2fb0, v68
	s_delay_alu instid0(VALU_DEP_4) | instskip(SKIP_2) | instid1(VALU_DEP_4)
	v_dual_fmac_f32 v144, 0xbe8c1d8e, v38 :: v_dual_add_f32 v17, v17, v149
	v_fma_f32 v138, 0xbf7ba420, v68, -v138
	v_mul_f32_e32 v166, 0x3dbcf732, v71
	v_fmamk_f32 v163, v27, 0xbf2c7751, v153
	s_delay_alu instid0(VALU_DEP_4) | instskip(SKIP_1) | instid1(VALU_DEP_4)
	v_dual_mul_f32 v168, 0x3f6eb680, v68 :: v_dual_add_f32 v17, v17, v147
	v_fmac_f32_e32 v140, 0xbf59a7d5, v36
	v_fmamk_f32 v167, v28, 0xbf7ee86f, v166
	s_delay_alu instid0(VALU_DEP_4)
	v_add_f32_e32 v158, v160, v163
	v_dual_add_f32 v160, v161, v162 :: v_dual_fmamk_f32 v161, v36, 0xbf1a4643, v154
	v_add_f32_e32 v17, v17, v145
	v_fmac_f32_e32 v142, 0x3f6eb680, v37
	v_fma_f32 v126, 0x3ee437d1, v84, -v126
	v_mul_f32_e32 v171, 0xbf7ba420, v85
	v_add_f32_e32 v160, v160, v161
	v_mul_f32_e32 v146, 0xbeb8f4ab, v116
	v_add_f32_e32 v161, v0, v148
	v_add_f32_e32 v143, v17, v143
	v_dual_add_f32 v126, v25, v126 :: v_dual_fmamk_f32 v173, v40, 0x3e3c28d5, v171
	s_delay_alu instid0(VALU_DEP_4) | instskip(NEXT) | instid1(VALU_DEP_4)
	v_fmamk_f32 v162, v35, 0x3f6eb680, v146
	v_add_f32_e32 v144, v161, v144
	s_delay_alu instid0(VALU_DEP_4) | instskip(NEXT) | instid1(VALU_DEP_3)
	v_dual_add_f32 v138, v143, v138 :: v_dual_fmac_f32 v19, 0x3ee437d1, v29
	v_dual_fmac_f32 v20, 0xbf7ba420, v33 :: v_dual_add_f32 v159, v160, v162
	v_mul_f32_e32 v148, 0xbe3c28d5, v115
	s_delay_alu instid0(VALU_DEP_4) | instskip(SKIP_3) | instid1(VALU_DEP_4)
	v_add_f32_e32 v144, v144, v142
	v_mul_f32_e32 v162, 0x3f2c7751, v118
	v_mul_f32_e32 v118, 0x3f763a35, v118
	;; [unrolled: 1-line block ×3, first 2 shown]
	v_dual_fmamk_f32 v149, v34, 0xbf7ba420, v148 :: v_dual_add_f32 v144, v144, v140
	v_fma_f32 v124, 0xbf7ba420, v79, -v124
	v_fma_f32 v112, 0x3f3d2fb0, v84, -v112
	v_fmac_f32_e32 v123, 0x3ee437d1, v39
	s_delay_alu instid0(VALU_DEP_4) | instskip(SKIP_1) | instid1(VALU_DEP_4)
	v_dual_add_f32 v147, v159, v149 :: v_dual_mul_f32 v142, 0x3f2c7751, v114
	v_add_f32_e32 v144, v144, v139
	v_dual_add_f32 v112, v25, v112 :: v_dual_fmac_f32 v111, 0x3dbcf732, v38
	v_fma_f32 v106, 0x3dbcf732, v85, -v106
	s_delay_alu instid0(VALU_DEP_4) | instskip(SKIP_3) | instid1(VALU_DEP_4)
	v_fmamk_f32 v149, v33, 0x3f3d2fb0, v142
	v_fma_f32 v125, 0xbf1a4643, v85, -v125
	v_add_f32_e32 v123, v0, v123
	v_fmac_f32_e32 v113, 0x3f3d2fb0, v39
	v_dual_mul_f32 v176, 0x3f6eb680, v76 :: v_dual_add_f32 v145, v147, v149
	v_fmac_f32_e32 v18, 0x3f3d2fb0, v34
	v_dual_mul_f32 v139, 0xbf763a35, v24 :: v_dual_add_f32 v106, v112, v106
	v_fmac_f32_e32 v129, 0x3f3d2fb0, v35
	v_fma_f32 v105, 0xbf1a4643, v79, -v105
	s_delay_alu instid0(VALU_DEP_4) | instskip(NEXT) | instid1(VALU_DEP_4)
	v_add_f32_e32 v144, v144, v18
	v_dual_mul_f32 v140, 0xbe8c1d8e, v67 :: v_dual_fmamk_f32 v147, v29, 0xbe8c1d8e, v139
	v_mul_f32_e32 v175, 0xbf7ee86f, v21
	v_add_f32_e32 v125, v126, v125
	s_delay_alu instid0(VALU_DEP_4) | instskip(NEXT) | instid1(VALU_DEP_4)
	v_add_f32_e32 v143, v144, v20
	v_fmamk_f32 v17, v26, 0x3f763a35, v140
	v_fma_f32 v20, 0x3ee437d1, v67, -v22
	v_add_f32_e32 v113, v0, v113
	v_add_f32_e32 v105, v106, v105
	v_fma_f32 v104, 0xbf7ba420, v76, -v104
	v_add_f32_e32 v18, v158, v17
	v_mul_f32_e32 v158, 0xbf763a35, v21
	v_mul_f32_e32 v149, 0xbe8c1d8e, v84
	v_dual_add_f32 v20, v138, v20 :: v_dual_add_f32 v19, v143, v19
	s_delay_alu instid0(VALU_DEP_3) | instskip(NEXT) | instid1(VALU_DEP_3)
	v_dual_add_f32 v17, v145, v147 :: v_dual_fmamk_f32 v138, v39, 0xbe8c1d8e, v158
	v_fmamk_f32 v22, v42, 0x3f763a35, v149
	v_mul_f32_e32 v159, 0xbf59a7d5, v85
	v_dual_mul_f32 v161, 0x3f3d2fb0, v79 :: v_dual_add_f32 v104, v105, v104
	v_fmac_f32_e32 v107, 0xbe8c1d8e, v34
	s_delay_alu instid0(VALU_DEP_4)
	v_add_f32_e32 v22, v25, v22
	v_add_f32_e32 v138, v0, v138
	v_fmamk_f32 v143, v40, 0xbf06c442, v159
	v_fma_f32 v103, 0xbf59a7d5, v72, -v103
	v_add_f32_e32 v124, v125, v124
	v_fma_f32 v125, 0xbe8c1d8e, v76, -v134
	v_add_f32_e32 v111, v113, v111
	v_dual_add_f32 v22, v22, v143 :: v_dual_fmamk_f32 v143, v32, 0xbf2c7751, v161
	v_mul_f32_e32 v163, 0x3ee437d1, v76
	v_add_f32_e32 v103, v104, v103
	v_fma_f32 v104, 0xbe8c1d8e, v71, -v23
	s_delay_alu instid0(VALU_DEP_4) | instskip(NEXT) | instid1(VALU_DEP_4)
	v_dual_add_f32 v83, v83, v25 :: v_dual_add_f32 v22, v22, v143
	v_fmamk_f32 v145, v31, 0x3f65296c, v163
	v_mul_f32_e32 v165, 0xbf7ba420, v72
	s_delay_alu instid0(VALU_DEP_4) | instskip(SKIP_1) | instid1(VALU_DEP_4)
	v_dual_fmac_f32 v110, 0xbf1a4643, v37 :: v_dual_add_f32 v103, v103, v104
	v_dual_fmac_f32 v130, 0xbf7ba420, v37 :: v_dual_fmac_f32 v109, 0xbf7ba420, v36
	v_add_f32_e32 v22, v22, v145
	s_delay_alu instid0(VALU_DEP_4) | instskip(NEXT) | instid1(VALU_DEP_4)
	v_fmamk_f32 v145, v30, 0x3e3c28d5, v165
	v_dual_mul_f32 v143, 0xbe3c28d5, v116 :: v_dual_add_f32 v106, v111, v110
	v_dual_fmac_f32 v121, 0xbf59a7d5, v29 :: v_dual_add_f32 v62, v0, v62
	s_delay_alu instid0(VALU_DEP_3) | instskip(SKIP_1) | instid1(VALU_DEP_4)
	v_dual_fmac_f32 v87, 0xbe8c1d8e, v35 :: v_dual_add_f32 v22, v22, v145
	v_mul_f32_e32 v145, 0xbeb8f4ab, v114
	v_fmamk_f32 v147, v35, 0xbf7ba420, v143
	v_mul_f32_e32 v114, 0x3f4c4adb, v114
	v_dual_mul_f32 v178, 0xbf59a7d5, v71 :: v_dual_add_f32 v105, v106, v109
	v_dual_add_f32 v22, v22, v167 :: v_dual_fmamk_f32 v167, v27, 0x3eb8f4ab, v168
	v_mul_f32_e32 v169, 0x3dbcf732, v84
	v_fmamk_f32 v170, v33, 0x3f6eb680, v145
	v_fmamk_f32 v134, v33, 0xbf1a4643, v114
	v_add_f32_e32 v124, v124, v125
	v_add_f32_e32 v22, v22, v167
	v_fmamk_f32 v167, v42, 0x3f7ee86f, v169
	v_fma_f32 v125, 0x3f3d2fb0, v72, -v135
	v_dual_add_f32 v62, v62, v61 :: v_dual_fmac_f32 v93, 0x3f3d2fb0, v38
	v_fmac_f32_e32 v108, 0xbf59a7d5, v35
	s_delay_alu instid0(VALU_DEP_4) | instskip(SKIP_3) | instid1(VALU_DEP_4)
	v_add_f32_e32 v167, v25, v167
	v_mul_f32_e32 v160, 0x3f06c442, v119
	v_mul_f32_e32 v119, 0xbe3c28d5, v119
	v_dual_mul_f32 v135, 0x3f2c7751, v24 :: v_dual_add_f32 v124, v124, v125
	v_add_f32_e32 v167, v167, v173
	v_fmamk_f32 v173, v32, 0xbf763a35, v174
	v_fmamk_f32 v144, v38, 0xbf59a7d5, v160
	;; [unrolled: 1-line block ×3, first 2 shown]
	v_fma_f32 v125, 0x3f6eb680, v71, -v133
	v_add_f32_e32 v105, v105, v108
	s_delay_alu instid0(VALU_DEP_4)
	v_dual_add_f32 v167, v167, v173 :: v_dual_add_f32 v138, v138, v144
	v_fmamk_f32 v144, v37, 0x3f3d2fb0, v162
	v_mul_f32_e32 v164, 0xbf65296c, v117
	v_mul_f32_e32 v173, 0x3ee437d1, v72
	;; [unrolled: 1-line block ×3, first 2 shown]
	v_dual_fmamk_f32 v133, v29, 0x3f3d2fb0, v135 :: v_dual_add_f32 v124, v124, v125
	v_add_f32_e32 v138, v138, v144
	v_fmamk_f32 v144, v36, 0x3ee437d1, v164
	v_mul_f32_e32 v116, 0xbf65296c, v116
	v_fma_f32 v125, 0x3dbcf732, v68, -v132
	v_dual_add_f32 v104, v105, v107 :: v_dual_fmac_f32 v91, 0x3ee437d1, v37
	s_delay_alu instid0(VALU_DEP_4) | instskip(SKIP_1) | instid1(VALU_DEP_4)
	v_add_f32_e32 v138, v138, v144
	v_dual_mul_f32 v144, 0x3f7ee86f, v115 :: v_dual_add_f32 v107, v83, v82
	v_add_f32_e32 v108, v124, v125
	v_fma_f32 v105, 0xbf59a7d5, v67, -v122
	s_delay_alu instid0(VALU_DEP_4) | instskip(NEXT) | instid1(VALU_DEP_4)
	v_add_f32_e32 v138, v138, v147
	v_dual_fmamk_f32 v147, v34, 0x3dbcf732, v144 :: v_dual_add_f32 v80, v107, v80
	v_fmac_f32_e32 v131, 0xbe8c1d8e, v36
	s_delay_alu instid0(VALU_DEP_4) | instskip(SKIP_1) | instid1(VALU_DEP_4)
	v_dual_add_f32 v83, v108, v105 :: v_dual_add_f32 v62, v62, v60
	v_fmac_f32_e32 v81, 0xbf1a4643, v34
	v_add_f32_e32 v147, v138, v147
	v_mul_f32_e32 v138, 0xbf1a4643, v67
	v_add_f32_e32 v75, v80, v75
	v_fmac_f32_e32 v127, 0x3dbcf732, v33
	s_delay_alu instid0(VALU_DEP_4) | instskip(NEXT) | instid1(VALU_DEP_4)
	v_dual_add_f32 v59, v62, v59 :: v_dual_add_f32 v170, v147, v170
	v_fmamk_f32 v172, v26, 0x3f4c4adb, v138
	s_delay_alu instid0(VALU_DEP_4) | instskip(SKIP_1) | instid1(VALU_DEP_4)
	v_dual_mul_f32 v147, 0xbf4c4adb, v24 :: v_dual_add_f32 v74, v75, v74
	v_fmac_f32_e32 v120, 0xbf1a4643, v38
	v_dual_add_f32 v56, v59, v56 :: v_dual_fmac_f32 v77, 0xbf7ba420, v29
	s_delay_alu instid0(VALU_DEP_4) | instskip(NEXT) | instid1(VALU_DEP_4)
	v_add_f32_e32 v22, v22, v172
	v_dual_fmamk_f32 v172, v29, 0xbf1a4643, v147 :: v_dual_add_f32 v73, v74, v73
	s_delay_alu instid0(VALU_DEP_4) | instskip(SKIP_1) | instid1(VALU_DEP_3)
	v_add_f32_e32 v120, v123, v120
	v_dual_fmac_f32 v128, 0x3f6eb680, v34 :: v_dual_fmac_f32 v95, 0x3f6eb680, v39
	v_dual_add_f32 v21, v170, v172 :: v_dual_fmamk_f32 v172, v31, 0xbeb8f4ab, v176
	v_fmamk_f32 v170, v39, 0x3dbcf732, v175
	s_delay_alu instid0(VALU_DEP_4) | instskip(SKIP_1) | instid1(VALU_DEP_4)
	v_add_f32_e32 v120, v120, v130
	v_dual_add_f32 v54, v56, v54 :: v_dual_mul_f32 v115, 0xbf06c442, v115
	v_dual_add_f32 v167, v167, v172 :: v_dual_fmamk_f32 v172, v30, 0x3f65296c, v173
	s_delay_alu instid0(VALU_DEP_4) | instskip(NEXT) | instid1(VALU_DEP_3)
	v_add_f32_e32 v170, v0, v170
	v_dual_add_f32 v112, v120, v131 :: v_dual_add_f32 v53, v54, v53
	v_fma_f32 v101, 0x3ee437d1, v68, -v101
	s_delay_alu instid0(VALU_DEP_3) | instskip(SKIP_4) | instid1(VALU_DEP_4)
	v_dual_add_f32 v167, v167, v172 :: v_dual_add_f32 v170, v170, v177
	v_fmamk_f32 v177, v37, 0xbe8c1d8e, v118
	v_fmamk_f32 v172, v28, 0x3f06c442, v178
	v_add_f32_e32 v110, v112, v129
	v_dual_fmac_f32 v102, 0x3ee437d1, v33 :: v_dual_add_f32 v53, v53, v58
	v_dual_add_f32 v170, v170, v177 :: v_dual_fmamk_f32 v177, v36, 0x3f6eb680, v117
	s_delay_alu instid0(VALU_DEP_4) | instskip(SKIP_2) | instid1(VALU_DEP_4)
	v_add_f32_e32 v167, v167, v172
	v_fmamk_f32 v172, v35, 0x3ee437d1, v116
	v_dual_add_f32 v106, v110, v128 :: v_dual_add_f32 v59, v0, v95
	v_dual_add_f32 v170, v170, v177 :: v_dual_mul_f32 v177, 0xbf1a4643, v68
	v_fma_f32 v84, 0x3f6eb680, v84, -v98
	s_delay_alu instid0(VALU_DEP_3) | instskip(NEXT) | instid1(VALU_DEP_3)
	v_dual_add_f32 v106, v106, v127 :: v_dual_fmac_f32 v89, 0x3dbcf732, v36
	v_add_f32_e32 v126, v170, v172
	s_delay_alu instid0(VALU_DEP_4) | instskip(SKIP_1) | instid1(VALU_DEP_4)
	v_fmamk_f32 v172, v27, 0xbf4c4adb, v177
	v_dual_fmamk_f32 v170, v34, 0xbf59a7d5, v115 :: v_dual_add_f32 v101, v103, v101
	v_dual_add_f32 v82, v106, v121 :: v_dual_add_f32 v53, v53, v55
	v_fma_f32 v98, 0x3f6eb680, v67, -v99
	s_delay_alu instid0(VALU_DEP_3) | instskip(SKIP_3) | instid1(VALU_DEP_4)
	v_add_f32_e32 v126, v126, v170
	v_mul_f32_e32 v170, 0x3f3d2fb0, v67
	v_fma_f32 v85, 0x3f3d2fb0, v85, -v97
	v_dual_add_f32 v80, v25, v84 :: v_dual_add_f32 v53, v50, v53
	v_add_f32_e32 v126, v126, v134
	s_delay_alu instid0(VALU_DEP_4) | instskip(NEXT) | instid1(VALU_DEP_3)
	v_dual_add_f32 v61, v101, v98 :: v_dual_fmamk_f32 v134, v26, 0xbf2c7751, v170
	v_add_f32_e32 v75, v80, v85
	v_fma_f32 v79, 0x3ee437d1, v79, -v96
	v_fma_f32 v74, 0x3dbcf732, v76, -v94
	;; [unrolled: 1-line block ×3, first 2 shown]
	v_add_f32_e32 v59, v59, v93
	s_delay_alu instid0(VALU_DEP_4) | instskip(SKIP_2) | instid1(VALU_DEP_3)
	v_dual_add_f32 v49, v49, v53 :: v_dual_add_f32 v62, v75, v79
	v_fmac_f32_e32 v136, 0xbf06c442, v42
	v_fmac_f32_e32 v100, 0x3f6eb680, v29
	v_dual_add_f32 v70, v73, v70 :: v_dual_add_f32 v47, v47, v49
	s_delay_alu instid0(VALU_DEP_4) | instskip(SKIP_3) | instid1(VALU_DEP_4)
	v_dual_add_f32 v62, v62, v74 :: v_dual_fmac_f32 v137, 0x3f65296c, v40
	v_fma_f32 v54, 0xbf1a4643, v71, -v90
	v_add_f32_e32 v59, v59, v91
	v_add_f32_e32 v49, v25, v136
	;; [unrolled: 1-line block ×4, first 2 shown]
	v_fma_f32 v58, 0xbf59a7d5, v68, -v88
	v_add_f32_e32 v59, v59, v89
	v_add_f32_e32 v45, v45, v47
	v_dual_add_f32 v47, v49, v137 :: v_dual_add_f32 v54, v62, v54
	v_fmac_f32_e32 v78, 0xbf59a7d5, v33
	s_delay_alu instid0(VALU_DEP_3) | instskip(SKIP_1) | instid1(VALU_DEP_4)
	v_dual_fmac_f32 v150, 0xbf7ee86f, v32 :: v_dual_add_f32 v45, v44, v45
	v_add_f32_e32 v56, v70, v69
	v_add_f32_e32 v54, v54, v58
	v_dual_add_f32 v58, v59, v87 :: v_dual_fmac_f32 v141, 0xbeb8f4ab, v30
	s_delay_alu instid0(VALU_DEP_4) | instskip(SKIP_2) | instid1(VALU_DEP_4)
	v_add_f32_e32 v47, v47, v150
	v_fma_f32 v55, 0xbf7ba420, v67, -v86
	v_fmac_f32_e32 v151, 0x3f4c4adb, v31
	v_add_f32_e32 v53, v58, v81
	v_dual_add_f32 v60, v102, v100 :: v_dual_add_f32 v43, v43, v45
	s_delay_alu instid0(VALU_DEP_4) | instskip(NEXT) | instid1(VALU_DEP_3)
	v_dual_add_f32 v50, v54, v55 :: v_dual_fmac_f32 v149, 0xbf763a35, v42
	v_add_f32_e32 v53, v53, v78
	v_dual_add_f32 v56, v56, v66 :: v_dual_add_f32 v45, v47, v151
	s_delay_alu instid0(VALU_DEP_4) | instskip(SKIP_1) | instid1(VALU_DEP_4)
	v_add_f32_e32 v43, v41, v43
	v_fmac_f32_e32 v159, 0x3f06c442, v40
	v_add_f32_e32 v49, v53, v77
	s_delay_alu instid0(VALU_DEP_4)
	v_add_f32_e32 v56, v65, v56
	v_fma_f32 v53, 0xbf59a7d5, v39, -v155
	v_add_f32_e32 v41, v45, v141
	v_fmac_f32_e32 v153, 0x3f2c7751, v27
	v_fmac_f32_e32 v152, 0xbe3c28d5, v28
	v_add_f32_e32 v56, v64, v56
	v_fma_f32 v47, 0x3dbcf732, v37, -v157
	v_fmac_f32_e32 v161, 0x3f2c7751, v32
	s_delay_alu instid0(VALU_DEP_4) | instskip(NEXT) | instid1(VALU_DEP_4)
	v_dual_fmac_f32 v168, 0xbeb8f4ab, v27 :: v_dual_add_f32 v41, v41, v152
	v_add_f32_e32 v54, v63, v56
	v_fmac_f32_e32 v166, 0x3f7ee86f, v28
	v_fmac_f32_e32 v174, 0x3f763a35, v32
	v_fma_f32 v32, 0xbf7ba420, v38, -v119
	v_add_f32_e32 v41, v41, v153
	v_dual_add_f32 v54, v57, v54 :: v_dual_add_f32 v167, v167, v172
	v_fmac_f32_e32 v176, 0x3eb8f4ab, v31
	v_fmac_f32_e32 v138, 0xbf4c4adb, v26
	v_fmac_f32_e32 v173, 0xbf65296c, v30
	s_delay_alu instid0(VALU_DEP_4) | instskip(SKIP_2) | instid1(VALU_DEP_3)
	v_add_f32_e32 v52, v52, v54
	v_dual_fmac_f32 v178, 0xbf06c442, v28 :: v_dual_add_f32 v23, v126, v133
	v_fma_f32 v28, 0x3ee437d1, v35, -v116
	v_dual_fmac_f32 v177, 0x3f4c4adb, v27 :: v_dual_add_f32 v48, v48, v52
	v_add_f32_e32 v52, v0, v53
	v_fma_f32 v53, 0x3ee437d1, v38, -v156
	v_fmac_f32_e32 v170, 0x3f2c7751, v26
	v_add_f32_e32 v24, v167, v134
	v_add_f32_e32 v44, v46, v48
	v_fma_f32 v48, 0xbf7ba420, v34, -v148
	v_add_f32_e32 v46, v52, v53
	v_fma_f32 v52, 0xbf59a7d5, v38, -v160
	s_delay_alu instid0(VALU_DEP_2) | instskip(SKIP_2) | instid1(VALU_DEP_2)
	v_add_f32_e32 v45, v46, v47
	v_fma_f32 v46, 0xbf1a4643, v36, -v154
	v_add_f32_e32 v47, v25, v149
	v_add_f32_e32 v45, v45, v46
	v_fma_f32 v46, 0x3f6eb680, v35, -v146
	s_delay_alu instid0(VALU_DEP_3) | instskip(NEXT) | instid1(VALU_DEP_2)
	v_dual_add_f32 v47, v47, v159 :: v_dual_fmac_f32 v140, 0xbf763a35, v26
	v_add_f32_e32 v45, v45, v46
	s_delay_alu instid0(VALU_DEP_2) | instskip(NEXT) | instid1(VALU_DEP_3)
	v_add_f32_e32 v47, v47, v161
	v_dual_fmac_f32 v163, 0xbf65296c, v31 :: v_dual_add_f32 v46, v41, v140
	v_fma_f32 v41, 0xbe8c1d8e, v39, -v158
	v_fma_f32 v39, 0x3dbcf732, v39, -v175
	v_fmac_f32_e32 v165, 0xbe3c28d5, v30
	s_delay_alu instid0(VALU_DEP_4)
	v_add_f32_e32 v47, v47, v163
	v_fma_f32 v31, 0xbe8c1d8e, v37, -v118
	v_add_f32_e32 v41, v0, v41
	v_add_f32_e32 v0, v0, v39
	v_fma_f32 v39, 0x3dbcf732, v34, -v144
	v_add_f32_e32 v47, v47, v165
	v_add_f32_e32 v45, v45, v48
	;; [unrolled: 1-line block ×3, first 2 shown]
	v_fma_f32 v52, 0x3f3d2fb0, v37, -v162
	v_fma_f32 v48, 0x3f3d2fb0, v33, -v142
	v_dual_fmac_f32 v169, 0xbf7ee86f, v42 :: v_dual_add_f32 v0, v0, v32
	s_delay_alu instid0(VALU_DEP_3) | instskip(SKIP_1) | instid1(VALU_DEP_4)
	v_dual_add_f32 v42, v47, v166 :: v_dual_add_f32 v41, v41, v52
	v_fma_f32 v47, 0x3ee437d1, v36, -v164
	v_add_f32_e32 v45, v45, v48
	v_fma_f32 v48, 0xbe8c1d8e, v29, -v139
	v_add_f32_e32 v25, v25, v169
	;; [unrolled: 2-line block ×3, first 2 shown]
	v_fmac_f32_e32 v171, 0xbe3c28d5, v40
	v_add_f32_e32 v40, v42, v168
	v_fma_f32 v42, 0xbf7ba420, v35, -v143
	v_dual_add_f32 v45, v45, v48 :: v_dual_add_f32 v0, v0, v31
	v_fma_f32 v30, 0x3f6eb680, v36, -v117
	v_fma_f32 v35, 0xbf1a4643, v29, -v147
	s_delay_alu instid0(VALU_DEP_4) | instskip(SKIP_4) | instid1(VALU_DEP_4)
	v_add_f32_e32 v38, v41, v42
	v_add_f32_e32 v25, v25, v171
	v_fma_f32 v34, 0xbf59a7d5, v34, -v115
	v_add_f32_e32 v0, v0, v30
	v_mad_co_u64_u32 v[30:31], null, s16, v51, 0
	v_dual_add_f32 v25, v25, v174 :: v_dual_add_f32 v32, v38, v39
	s_delay_alu instid0(VALU_DEP_3) | instskip(SKIP_2) | instid1(VALU_DEP_4)
	v_add_f32_e32 v36, v0, v28
	v_add_f32_e32 v28, v40, v138
	v_fma_f32 v33, 0xbf1a4643, v33, -v114
	v_dual_add_f32 v25, v25, v176 :: v_dual_mov_b32 v0, v31
	v_add_f32_e32 v32, v32, v37
	v_add_nc_u32_e32 v38, 0x1dc, v51
	v_add_nc_u32_e32 v41, 0x253, v51
	s_delay_alu instid0(VALU_DEP_4) | instskip(NEXT) | instid1(VALU_DEP_4)
	v_dual_add_f32 v25, v25, v173 :: v_dual_add_nc_u32 v42, 0x2ca, v51
	v_add_f32_e32 v27, v32, v35
	v_mad_co_u64_u32 v[31:32], null, s17, v51, v[0:1]
	s_delay_alu instid0(VALU_DEP_3) | instskip(SKIP_1) | instid1(VALU_DEP_2)
	v_dual_add_f32 v25, v25, v178 :: v_dual_add_nc_u32 v32, 0x77, v51
	v_lshlrev_b64_e32 v[0:1], 3, v[1:2]
	v_add_f32_e32 v35, v25, v177
	v_dual_add_f32 v25, v36, v34 :: v_dual_add_nc_u32 v34, 0xee, v51
	v_fma_f32 v36, 0x3f3d2fb0, v29, -v135
	v_add_co_u32 v29, vcc_lo, s6, v3
	s_wait_alu 0xfffd
	v_add_co_ci_u32_e32 v37, vcc_lo, s7, v4, vcc_lo
	v_mad_co_u64_u32 v[3:4], null, s16, v34, 0
	v_add_f32_e32 v33, v25, v33
	v_mad_co_u64_u32 v[25:26], null, s16, v32, 0
	v_add_co_u32 v39, vcc_lo, v29, v0
	s_wait_alu 0xfffd
	v_add_co_ci_u32_e32 v40, vcc_lo, v37, v1, vcc_lo
	v_lshlrev_b64_e32 v[0:1], 3, v[30:31]
	s_delay_alu instid0(VALU_DEP_4) | instskip(NEXT) | instid1(VALU_DEP_2)
	v_dual_mov_b32 v2, v26 :: v_dual_add_nc_u32 v37, 0x165, v51
	v_add_co_u32 v0, vcc_lo, v39, v0
	s_delay_alu instid0(VALU_DEP_2) | instskip(SKIP_3) | instid1(VALU_DEP_2)
	v_mad_co_u64_u32 v[29:30], null, s17, v32, v[2:3]
	v_mov_b32_e32 v2, v4
	s_wait_alu 0xfffd
	v_add_co_ci_u32_e32 v1, vcc_lo, v40, v1, vcc_lo
	v_mad_co_u64_u32 v[30:31], null, s17, v34, v[2:3]
	v_add_f32_e32 v34, v35, v170
	v_mad_co_u64_u32 v[31:32], null, s16, v37, 0
	v_mov_b32_e32 v26, v29
	v_add_f32_e32 v33, v33, v36
	global_store_b64 v[0:1], v[43:44], off
	v_mov_b32_e32 v4, v30
	v_mad_co_u64_u32 v[35:36], null, s16, v41, 0
	v_lshlrev_b64_e32 v[0:1], 3, v[25:26]
	v_mov_b32_e32 v2, v32
	s_delay_alu instid0(VALU_DEP_4) | instskip(SKIP_1) | instid1(VALU_DEP_4)
	v_lshlrev_b64_e32 v[3:4], 3, v[3:4]
	v_mad_co_u64_u32 v[25:26], null, s16, v38, 0
	v_add_co_u32 v0, vcc_lo, v39, v0
	s_delay_alu instid0(VALU_DEP_3) | instskip(SKIP_2) | instid1(VALU_DEP_4)
	v_mad_co_u64_u32 v[29:30], null, s17, v37, v[2:3]
	s_wait_alu 0xfffd
	v_add_co_ci_u32_e32 v1, vcc_lo, v40, v1, vcc_lo
	v_mov_b32_e32 v2, v26
	v_add_co_u32 v3, vcc_lo, v39, v3
	s_wait_alu 0xfffd
	v_add_co_ci_u32_e32 v4, vcc_lo, v40, v4, vcc_lo
	v_mov_b32_e32 v32, v29
	s_delay_alu instid0(VALU_DEP_3)
	v_mad_co_u64_u32 v[29:30], null, s17, v38, v[2:3]
	v_mad_co_u64_u32 v[37:38], null, s16, v42, 0
	v_mov_b32_e32 v2, v36
	s_clause 0x1
	global_store_b64 v[0:1], v[49:50], off
	global_store_b64 v[3:4], v[60:61], off
	v_mov_b32_e32 v26, v29
	v_mad_co_u64_u32 v[2:3], null, s17, v41, v[2:3]
	v_mov_b32_e32 v3, v38
	v_add_nc_u32_e32 v29, 0x341, v51
	v_lshlrev_b64_e32 v[0:1], 3, v[31:32]
	v_lshlrev_b64_e32 v[25:26], 3, v[25:26]
	v_add_nc_u32_e32 v32, 0x3b8, v51
	v_dual_mov_b32 v36, v2 :: v_dual_add_nc_u32 v41, 0x4a6, v51
	v_mad_co_u64_u32 v[2:3], null, s17, v42, v[3:4]
	v_add_co_u32 v0, vcc_lo, v39, v0
	s_wait_alu 0xfffd
	v_add_co_ci_u32_e32 v1, vcc_lo, v40, v1, vcc_lo
	v_add_co_u32 v3, vcc_lo, v39, v25
	s_wait_alu 0xfffd
	v_add_co_ci_u32_e32 v4, vcc_lo, v40, v26, vcc_lo
	v_mad_co_u64_u32 v[25:26], null, s16, v29, 0
	v_mov_b32_e32 v38, v2
	global_store_b64 v[0:1], v[82:83], off
	v_lshlrev_b64_e32 v[0:1], 3, v[35:36]
	global_store_b64 v[3:4], v[23:24], off
	v_mad_co_u64_u32 v[23:24], null, s16, v32, 0
	v_lshlrev_b64_e32 v[3:4], 3, v[37:38]
	v_mov_b32_e32 v2, v26
	v_add_co_u32 v0, vcc_lo, v39, v0
	v_add_nc_u32_e32 v38, 0x42f, v51
	s_wait_alu 0xfffd
	v_add_co_ci_u32_e32 v1, vcc_lo, v40, v1, vcc_lo
	v_mad_co_u64_u32 v[29:30], null, s17, v29, v[2:3]
	v_add_co_u32 v2, vcc_lo, v39, v3
	s_wait_alu 0xfffd
	v_add_co_ci_u32_e32 v3, vcc_lo, v40, v4, vcc_lo
	v_mov_b32_e32 v4, v24
	v_mad_co_u64_u32 v[30:31], null, s16, v38, 0
	v_mov_b32_e32 v26, v29
	global_store_b64 v[0:1], v[21:22], off
	v_mad_co_u64_u32 v[35:36], null, s17, v32, v[4:5]
	v_mad_co_u64_u32 v[36:37], null, s16, v41, 0
	global_store_b64 v[2:3], v[19:20], off
	v_lshlrev_b64_e32 v[1:2], 3, v[25:26]
	v_dual_mov_b32 v0, v31 :: v_dual_add_nc_u32 v25, 0x51d, v51
	v_mov_b32_e32 v24, v35
	s_delay_alu instid0(VALU_DEP_2) | instskip(SKIP_2) | instid1(VALU_DEP_4)
	v_mad_co_u64_u32 v[3:4], null, s17, v38, v[0:1]
	v_mov_b32_e32 v0, v37
	v_add_co_u32 v1, vcc_lo, v39, v1
	v_lshlrev_b64_e32 v[19:20], 3, v[23:24]
	s_wait_alu 0xfffd
	v_add_co_ci_u32_e32 v2, vcc_lo, v40, v2, vcc_lo
	s_delay_alu instid0(VALU_DEP_3)
	v_mad_co_u64_u32 v[21:22], null, s17, v41, v[0:1]
	v_mad_co_u64_u32 v[22:23], null, s16, v25, 0
	v_mov_b32_e32 v31, v3
	v_add_co_u32 v3, vcc_lo, v39, v19
	global_store_b64 v[1:2], v[17:18], off
	s_wait_alu 0xfffd
	v_add_co_ci_u32_e32 v4, vcc_lo, v40, v20, vcc_lo
	v_lshlrev_b64_e32 v[1:2], 3, v[30:31]
	v_dual_mov_b32 v37, v21 :: v_dual_mov_b32 v0, v23
	global_store_b64 v[3:4], v[15:16], off
	v_add_nc_u32_e32 v17, 0x594, v51
	v_add_nc_u32_e32 v18, 0x60b, v51
	v_lshlrev_b64_e32 v[3:4], 3, v[36:37]
	v_mad_co_u64_u32 v[15:16], null, s17, v25, v[0:1]
	v_add_co_u32 v0, vcc_lo, v39, v1
	s_wait_alu 0xfffd
	v_add_co_ci_u32_e32 v1, vcc_lo, v40, v2, vcc_lo
	s_delay_alu instid0(VALU_DEP_4)
	v_add_co_u32 v2, vcc_lo, v39, v3
	s_wait_alu 0xfffd
	v_add_co_ci_u32_e32 v3, vcc_lo, v40, v4, vcc_lo
	v_mov_b32_e32 v23, v15
	v_mad_co_u64_u32 v[15:16], null, s16, v17, 0
	v_add_nc_u32_e32 v19, 0x682, v51
	s_clause 0x1
	global_store_b64 v[0:1], v[13:14], off
	global_store_b64 v[2:3], v[45:46], off
	v_mad_co_u64_u32 v[2:3], null, s16, v18, 0
	v_mad_co_u64_u32 v[13:14], null, s16, v19, 0
	v_mov_b32_e32 v4, v16
	v_lshlrev_b64_e32 v[0:1], 3, v[22:23]
	v_add_nc_u32_e32 v22, 0x6f9, v51
	v_add_nc_u32_e32 v23, 0x770, v51
	s_delay_alu instid0(VALU_DEP_4)
	v_mad_co_u64_u32 v[16:17], null, s17, v17, v[4:5]
	v_mad_co_u64_u32 v[3:4], null, s17, v18, v[3:4]
	v_mov_b32_e32 v4, v14
	v_mad_co_u64_u32 v[17:18], null, s16, v22, 0
	v_add_co_u32 v0, vcc_lo, v39, v0
	s_wait_alu 0xfffd
	v_add_co_ci_u32_e32 v1, vcc_lo, v40, v1, vcc_lo
	v_mad_co_u64_u32 v[19:20], null, s17, v19, v[4:5]
	v_mad_co_u64_u32 v[20:21], null, s16, v23, 0
	global_store_b64 v[0:1], v[11:12], off
	v_mov_b32_e32 v0, v18
	v_lshlrev_b64_e32 v[2:3], 3, v[2:3]
	v_lshlrev_b64_e32 v[11:12], 3, v[15:16]
	v_mov_b32_e32 v14, v19
	s_delay_alu instid0(VALU_DEP_4) | instskip(SKIP_1) | instid1(VALU_DEP_4)
	v_mad_co_u64_u32 v[0:1], null, s17, v22, v[0:1]
	v_mov_b32_e32 v1, v21
	v_add_co_u32 v11, vcc_lo, v39, v11
	s_wait_alu 0xfffd
	v_add_co_ci_u32_e32 v12, vcc_lo, v40, v12, vcc_lo
	s_delay_alu instid0(VALU_DEP_3)
	v_mad_co_u64_u32 v[15:16], null, s17, v23, v[1:2]
	v_mov_b32_e32 v18, v0
	v_lshlrev_b64_e32 v[13:14], 3, v[13:14]
	v_add_co_u32 v0, vcc_lo, v39, v2
	s_wait_alu 0xfffd
	v_add_co_ci_u32_e32 v1, vcc_lo, v40, v3, vcc_lo
	v_mov_b32_e32 v21, v15
	v_lshlrev_b64_e32 v[2:3], 3, v[17:18]
	v_add_co_u32 v13, vcc_lo, v39, v13
	s_wait_alu 0xfffd
	v_add_co_ci_u32_e32 v14, vcc_lo, v40, v14, vcc_lo
	v_lshlrev_b64_e32 v[15:16], 3, v[20:21]
	s_delay_alu instid0(VALU_DEP_4) | instskip(SKIP_2) | instid1(VALU_DEP_3)
	v_add_co_u32 v2, vcc_lo, v39, v2
	s_wait_alu 0xfffd
	v_add_co_ci_u32_e32 v3, vcc_lo, v40, v3, vcc_lo
	v_add_co_u32 v15, vcc_lo, v39, v15
	s_wait_alu 0xfffd
	v_add_co_ci_u32_e32 v16, vcc_lo, v40, v16, vcc_lo
	s_clause 0x4
	global_store_b64 v[11:12], v[27:28], off
	global_store_b64 v[0:1], v[33:34], off
	global_store_b64 v[13:14], v[9:10], off
	global_store_b64 v[2:3], v[7:8], off
	global_store_b64 v[15:16], v[5:6], off
.LBB0_23:
	s_nop 0
	s_sendmsg sendmsg(MSG_DEALLOC_VGPRS)
	s_endpgm
	.section	.rodata,"a",@progbits
	.p2align	6, 0x0
	.amdhsa_kernel fft_rtc_back_len2023_factors_17_7_17_wgs_119_tpt_119_halfLds_sp_op_CI_CI_sbrr_dirReg
		.amdhsa_group_segment_fixed_size 0
		.amdhsa_private_segment_fixed_size 0
		.amdhsa_kernarg_size 104
		.amdhsa_user_sgpr_count 2
		.amdhsa_user_sgpr_dispatch_ptr 0
		.amdhsa_user_sgpr_queue_ptr 0
		.amdhsa_user_sgpr_kernarg_segment_ptr 1
		.amdhsa_user_sgpr_dispatch_id 0
		.amdhsa_user_sgpr_private_segment_size 0
		.amdhsa_wavefront_size32 1
		.amdhsa_uses_dynamic_stack 0
		.amdhsa_enable_private_segment 0
		.amdhsa_system_sgpr_workgroup_id_x 1
		.amdhsa_system_sgpr_workgroup_id_y 0
		.amdhsa_system_sgpr_workgroup_id_z 0
		.amdhsa_system_sgpr_workgroup_info 0
		.amdhsa_system_vgpr_workitem_id 0
		.amdhsa_next_free_vgpr 189
		.amdhsa_next_free_sgpr 43
		.amdhsa_reserve_vcc 1
		.amdhsa_float_round_mode_32 0
		.amdhsa_float_round_mode_16_64 0
		.amdhsa_float_denorm_mode_32 3
		.amdhsa_float_denorm_mode_16_64 3
		.amdhsa_fp16_overflow 0
		.amdhsa_workgroup_processor_mode 1
		.amdhsa_memory_ordered 1
		.amdhsa_forward_progress 0
		.amdhsa_round_robin_scheduling 0
		.amdhsa_exception_fp_ieee_invalid_op 0
		.amdhsa_exception_fp_denorm_src 0
		.amdhsa_exception_fp_ieee_div_zero 0
		.amdhsa_exception_fp_ieee_overflow 0
		.amdhsa_exception_fp_ieee_underflow 0
		.amdhsa_exception_fp_ieee_inexact 0
		.amdhsa_exception_int_div_zero 0
	.end_amdhsa_kernel
	.text
.Lfunc_end0:
	.size	fft_rtc_back_len2023_factors_17_7_17_wgs_119_tpt_119_halfLds_sp_op_CI_CI_sbrr_dirReg, .Lfunc_end0-fft_rtc_back_len2023_factors_17_7_17_wgs_119_tpt_119_halfLds_sp_op_CI_CI_sbrr_dirReg
                                        ; -- End function
	.section	.AMDGPU.csdata,"",@progbits
; Kernel info:
; codeLenInByte = 18284
; NumSgprs: 45
; NumVgprs: 189
; ScratchSize: 0
; MemoryBound: 0
; FloatMode: 240
; IeeeMode: 1
; LDSByteSize: 0 bytes/workgroup (compile time only)
; SGPRBlocks: 5
; VGPRBlocks: 23
; NumSGPRsForWavesPerEU: 45
; NumVGPRsForWavesPerEU: 189
; Occupancy: 8
; WaveLimiterHint : 1
; COMPUTE_PGM_RSRC2:SCRATCH_EN: 0
; COMPUTE_PGM_RSRC2:USER_SGPR: 2
; COMPUTE_PGM_RSRC2:TRAP_HANDLER: 0
; COMPUTE_PGM_RSRC2:TGID_X_EN: 1
; COMPUTE_PGM_RSRC2:TGID_Y_EN: 0
; COMPUTE_PGM_RSRC2:TGID_Z_EN: 0
; COMPUTE_PGM_RSRC2:TIDIG_COMP_CNT: 0
	.text
	.p2alignl 7, 3214868480
	.fill 96, 4, 3214868480
	.type	__hip_cuid_8860bebe7a914b03,@object ; @__hip_cuid_8860bebe7a914b03
	.section	.bss,"aw",@nobits
	.globl	__hip_cuid_8860bebe7a914b03
__hip_cuid_8860bebe7a914b03:
	.byte	0                               ; 0x0
	.size	__hip_cuid_8860bebe7a914b03, 1

	.ident	"AMD clang version 19.0.0git (https://github.com/RadeonOpenCompute/llvm-project roc-6.4.0 25133 c7fe45cf4b819c5991fe208aaa96edf142730f1d)"
	.section	".note.GNU-stack","",@progbits
	.addrsig
	.addrsig_sym __hip_cuid_8860bebe7a914b03
	.amdgpu_metadata
---
amdhsa.kernels:
  - .args:
      - .actual_access:  read_only
        .address_space:  global
        .offset:         0
        .size:           8
        .value_kind:     global_buffer
      - .offset:         8
        .size:           8
        .value_kind:     by_value
      - .actual_access:  read_only
        .address_space:  global
        .offset:         16
        .size:           8
        .value_kind:     global_buffer
      - .actual_access:  read_only
        .address_space:  global
        .offset:         24
        .size:           8
        .value_kind:     global_buffer
      - .actual_access:  read_only
        .address_space:  global
        .offset:         32
        .size:           8
        .value_kind:     global_buffer
      - .offset:         40
        .size:           8
        .value_kind:     by_value
      - .actual_access:  read_only
        .address_space:  global
        .offset:         48
        .size:           8
        .value_kind:     global_buffer
      - .actual_access:  read_only
        .address_space:  global
        .offset:         56
        .size:           8
        .value_kind:     global_buffer
      - .offset:         64
        .size:           4
        .value_kind:     by_value
      - .actual_access:  read_only
        .address_space:  global
        .offset:         72
        .size:           8
        .value_kind:     global_buffer
      - .actual_access:  read_only
        .address_space:  global
        .offset:         80
        .size:           8
        .value_kind:     global_buffer
      - .actual_access:  read_only
        .address_space:  global
        .offset:         88
        .size:           8
        .value_kind:     global_buffer
      - .actual_access:  write_only
        .address_space:  global
        .offset:         96
        .size:           8
        .value_kind:     global_buffer
    .group_segment_fixed_size: 0
    .kernarg_segment_align: 8
    .kernarg_segment_size: 104
    .language:       OpenCL C
    .language_version:
      - 2
      - 0
    .max_flat_workgroup_size: 119
    .name:           fft_rtc_back_len2023_factors_17_7_17_wgs_119_tpt_119_halfLds_sp_op_CI_CI_sbrr_dirReg
    .private_segment_fixed_size: 0
    .sgpr_count:     45
    .sgpr_spill_count: 0
    .symbol:         fft_rtc_back_len2023_factors_17_7_17_wgs_119_tpt_119_halfLds_sp_op_CI_CI_sbrr_dirReg.kd
    .uniform_work_group_size: 1
    .uses_dynamic_stack: false
    .vgpr_count:     189
    .vgpr_spill_count: 0
    .wavefront_size: 32
    .workgroup_processor_mode: 1
amdhsa.target:   amdgcn-amd-amdhsa--gfx1201
amdhsa.version:
  - 1
  - 2
...

	.end_amdgpu_metadata
